;; amdgpu-corpus repo=ROCm/aiter kind=harvested arch=n/a opt=n/a

/root/src/amdgpu-assembly/repos/ROCm__aiter/hsa/gfx950/fmoe_2stages/fmoe_stage1_bf16_pertokenFp8_doweight_g1u1_16x256_3tg_pf2.co:	file format elf64-amdgpu

Disassembly of section .text:

0000000000002a00 <_ZN5aiter57fmoe_stage1_bf16_pertokenFp8_doweight_g1u1_16x256_3tg_pf2E>:
	s_and_b32 s1, s1, 0xffff                                   // 000000002A00: 8601FF01 0000FFFF
	s_load_dwordx2 s[8:9], s[0:1], 0x0                         // 000000002A08: C0060200 00000000
	s_load_dwordx2 s[20:21], s[0:1], 0x10                      // 000000002A10: C0060500 00000010
	s_load_dwordx2 s[24:25], s[0:1], 0x20                      // 000000002A18: C0060600 00000020
	s_load_dwordx2 s[48:49], s[0:1], 0x30                      // 000000002A20: C0060C00 00000030
	s_load_dwordx2 s[28:29], s[0:1], 0x40                      // 000000002A28: C0060700 00000040
	s_load_dwordx2 s[32:33], s[0:1], 0x50                      // 000000002A30: C0060800 00000050
	s_load_dwordx2 s[36:37], s[0:1], 0x60                      // 000000002A38: C0060900 00000060
	s_load_dwordx2 s[12:13], s[0:1], 0x70                      // 000000002A40: C0060300 00000070
	s_load_dwordx2 s[44:45], s[0:1], 0x80                      // 000000002A48: C0060B00 00000080
	s_mov_b32 s89, 0                                           // 000000002A50: BED90080
	s_load_dword s64, s[0:1], 0x90                             // 000000002A54: C0021000 00000090
	s_load_dword s65, s[0:1], 0xa0                             // 000000002A5C: C0021040 000000A0
	s_load_dword s66, s[0:1], 0xb0                             // 000000002A64: C0021080 000000B0
	s_load_dword s67, s[0:1], 0xc0                             // 000000002A6C: C00210C0 000000C0
	s_load_dword s68, s[0:1], 0xd0                             // 000000002A74: C0021100 000000D0
	s_load_dword s69, s[0:1], 0xe0                             // 000000002A7C: C0021140 000000E0
	s_load_dword s71, s[0:1], 0xf0                             // 000000002A84: C00211C0 000000F0
	s_load_dword s72, s[0:1], 0x100                            // 000000002A8C: C0021200 00000100
	s_load_dword s74, s[0:1], 0x110                            // 000000002A94: C0021280 00000110
	s_load_dword s76, s[0:1], 0x120                            // 000000002A9C: C0021300 00000120
	s_load_dword s56, s[0:1], 0x130                            // 000000002AA4: C0020E00 00000130
	s_load_dword s88, s[0:1], 0x140                            // 000000002AAC: C0021600 00000140
	s_load_dword s89, s[0:1], 0x150                            // 000000002AB4: C0021640 00000150
	s_load_dwordx2 s[40:41], s[0:1], 0x160                     // 000000002ABC: C0060A00 00000160
	v_lshrrev_b32_e32 v1, 10, v0                               // 000000002AC4: 2002008A
	v_lshrrev_b32_e32 v2, 10, v1                               // 000000002AC8: 2004028A
	v_and_b32_e32 v2, 0x3ff, v2                                // 000000002ACC: 260404FF 000003FF
	v_and_b32_e32 v1, 0x3ff, v1                                // 000000002AD4: 260202FF 000003FF
	v_and_b32_e32 v0, 0x3ff, v0                                // 000000002ADC: 260000FF 000003FF
	v_lshrrev_b32_e32 v3, 6, v0                                // 000000002AE4: 20060086
	v_and_b32_e32 v0, 63, v0                                   // 000000002AE8: 260000BF
	s_mov_b32 s2, s2                                           // 000000002AEC: BE820002
	s_mov_b32 s3, s3                                           // 000000002AF0: BE830003
	s_mov_b32 s4, s4                                           // 000000002AF4: BE840004
	v_readfirstlane_b32 s7, v3                                 // 000000002AF8: 7E0E0503
	s_waitcnt lgkmcnt(0)                                       // 000000002AFC: BF8CC07F
	s_and_b32 s49, s49, 0xffff                                 // 000000002B00: 8631FF31 0000FFFF
	s_load_dword s48, s[48:49], 0x0                            // 000000002B08: C0020C18 00000000
	s_and_b32 s45, s45, 0xffff                                 // 000000002B10: 862DFF2D 0000FFFF
	s_and_b32 s9, s9, 0xffff                                   // 000000002B18: 8609FF09 0000FFFF
	s_mul_i32 s60, s66, s68                                    // 000000002B20: 923C4442
	s_mul_i32 s61, s66, 4                                      // 000000002B24: 923D8442
	s_mov_b32 s22, s60                                         // 000000002B28: BE96003C
	s_mov_b32 s26, -16                                         // 000000002B2C: BE9A00D0
	s_mov_b32 s30, s61                                         // 000000002B30: BE9E003D
	s_mov_b32 s14, 64                                          // 000000002B34: BE8E00C0
	s_mov_b32 s38, -16                                         // 000000002B38: BEA600D0
	s_mov_b32 s10, -16                                         // 000000002B3C: BE8A00D0
	s_mov_b32 s34, 0x400                                       // 000000002B40: BEA200FF 00000400
	s_mov_b32 s23, 0x20000                                     // 000000002B48: BE9700FF 00020000
	s_mov_b32 s27, 0x20000                                     // 000000002B50: BE9B00FF 00020000
	s_mov_b32 s31, 0x20000                                     // 000000002B58: BE9F00FF 00020000
	s_mov_b32 s35, 0x20000                                     // 000000002B60: BEA300FF 00020000
	s_mov_b32 s15, 0x20000                                     // 000000002B68: BE8F00FF 00020000
	s_mov_b32 s39, 0x20000                                     // 000000002B70: BEA700FF 00020000
	s_mov_b32 s11, 0x20000                                     // 000000002B78: BE8B00FF 00020000
	s_and_b32 s21, s21, 0xffff                                 // 000000002B80: 8615FF15 0000FFFF
	s_and_b32 s25, s25, 0xffff                                 // 000000002B88: 8619FF19 0000FFFF
	s_and_b32 s29, s29, 0xffff                                 // 000000002B90: 861DFF1D 0000FFFF
	s_and_b32 s33, s33, 0xffff                                 // 000000002B98: 8621FF21 0000FFFF
	s_and_b32 s13, s13, 0xffff                                 // 000000002BA0: 860DFF0D 0000FFFF
	s_and_b32 s37, s37, 0xffff                                 // 000000002BA8: 8625FF25 0000FFFF
	s_or_b32 s21, s21, 0x40000                                 // 000000002BB0: 8715FF15 00040000
	s_or_b32 s25, s25, 0x40000                                 // 000000002BB8: 8719FF19 00040000
	s_or_b32 s29, s29, 0x40000                                 // 000000002BC0: 871DFF1D 00040000
	s_or_b32 s33, s33, 0x40000                                 // 000000002BC8: 8721FF21 00040000
	s_or_b32 s13, s13, 0x40000                                 // 000000002BD0: 870DFF0D 00040000
	s_or_b32 s37, s37, 0x40000                                 // 000000002BD8: 8725FF25 00040000
	s_mov_b32 s42, -16                                         // 000000002BE0: BEAA00D0
	s_mov_b32 s43, 0x20000                                     // 000000002BE4: BEAB00FF 00020000
	s_and_b32 s41, s41, 0xffff                                 // 000000002BEC: 8629FF29 0000FFFF
	s_or_b32 s41, s41, 0x40000                                 // 000000002BF4: 8729FF29 00040000
	v_accvgpr_write_b32 a79, 0                                 // 000000002BFC: D3D9404F 18000080
	v_mov_b32_e32 v72, 0                                       // 000000002C04: 7E900280
	s_waitcnt lgkmcnt(0)                                       // 000000002C08: BF8CC07F
	s_mul_i32 s60, s3, 16                                      // 000000002C0C: 923C9003
	s_cmp_lt_i32 s60, s48                                      // 000000002C10: BF04303C
	s_cbranch_scc0 label_0BC0                                  // 000000002C14: BF840B37
	s_mov_b32 s80, 0                                           // 000000002C18: BED00080
	s_lshr_b32 s81, s64, s88                                   // 000000002C1C: 8F515840
	s_mul_i32 s60, s3, 4                                       // 000000002C20: 923C8403
	s_add_u32 s44, s60, s44                                    // 000000002C24: 802C2C3C
	s_addc_u32 s45, 0, s45                                     // 000000002C28: 822D2D80
	s_load_dword s5, s[44:45], 0x0                             // 000000002C2C: C0020156 00000000
	s_mul_i32 s60, s3, 16                                      // 000000002C34: 923C9003
	s_mul_i32 s60, 4, s60                                      // 000000002C38: 923C3C84
	s_add_u32 s12, s60, s12                                    // 000000002C3C: 800C0C3C
	s_addc_u32 s13, 0, s13                                     // 000000002C40: 820D0D80
	v_and_b32_e32 v4, 15, v0                                   // 000000002C44: 2608008F
	v_lshlrev_b32_e32 v4, 2, v4                                // 000000002C48: 24080882
	buffer_load_dword v28, v4, s[12:15], 0 offen               // 000000002C4C: E0501000 80031C04
	v_add_u32_e32 v4, 64, v4                                   // 000000002C54: 680808C0
	s_mul_i32 s60, 4, s7                                       // 000000002C58: 923C0784
	v_lshlrev_b32_e32 v4, 4, v0                                // 000000002C5C: 24080084
	v_add_u32_e32 v4, s60, v4                                  // 000000002C60: 6808083C
	buffer_load_dword v3, v4, s[12:15], 0 offen                // 000000002C64: E0501000 80030304
	v_mov_b32_e32 v40, 0                                       // 000000002C6C: 7E500280
	v_mov_b32_e32 v56, 0                                       // 000000002C70: 7E700280
	v_mov_b32_e32 v41, 0                                       // 000000002C74: 7E520280
	v_mov_b32_e32 v57, 0                                       // 000000002C78: 7E720280
	v_mov_b32_e32 v42, 0                                       // 000000002C7C: 7E540280
	v_mov_b32_e32 v58, 0                                       // 000000002C80: 7E740280
	v_mov_b32_e32 v43, 0                                       // 000000002C84: 7E560280
	v_mov_b32_e32 v59, 0                                       // 000000002C88: 7E760280
	v_mov_b32_e32 v44, 0                                       // 000000002C8C: 7E580280
	v_mov_b32_e32 v60, 0                                       // 000000002C90: 7E780280
	v_mov_b32_e32 v45, 0                                       // 000000002C94: 7E5A0280
	v_mov_b32_e32 v61, 0                                       // 000000002C98: 7E7A0280
	v_mov_b32_e32 v46, 0                                       // 000000002C9C: 7E5C0280
	v_mov_b32_e32 v62, 0                                       // 000000002CA0: 7E7C0280
	v_mov_b32_e32 v47, 0                                       // 000000002CA4: 7E5E0280
	v_mov_b32_e32 v63, 0                                       // 000000002CA8: 7E7E0280
	v_mov_b32_e32 v48, 0                                       // 000000002CAC: 7E600280
	v_mov_b32_e32 v64, 0                                       // 000000002CB0: 7E800280
	v_mov_b32_e32 v49, 0                                       // 000000002CB4: 7E620280
	v_mov_b32_e32 v65, 0                                       // 000000002CB8: 7E820280
	v_mov_b32_e32 v50, 0                                       // 000000002CBC: 7E640280
	v_mov_b32_e32 v66, 0                                       // 000000002CC0: 7E840280
	v_mov_b32_e32 v51, 0                                       // 000000002CC4: 7E660280
	v_mov_b32_e32 v67, 0                                       // 000000002CC8: 7E860280
	v_mov_b32_e32 v52, 0                                       // 000000002CCC: 7E680280
	v_mov_b32_e32 v68, 0                                       // 000000002CD0: 7E880280
	v_mov_b32_e32 v53, 0                                       // 000000002CD4: 7E6A0280
	v_mov_b32_e32 v69, 0                                       // 000000002CD8: 7E8A0280
	v_mov_b32_e32 v54, 0                                       // 000000002CDC: 7E6C0280
	v_mov_b32_e32 v70, 0                                       // 000000002CE0: 7E8C0280
	v_mov_b32_e32 v55, 0                                       // 000000002CE4: 7E6E0280
	v_mov_b32_e32 v71, 0                                       // 000000002CE8: 7E8E0280
	s_mul_i32 s60, s2, 0x200                                   // 000000002CEC: 923CFF02 00000200
	s_cmp_eq_u32 s88, 0                                        // 000000002CF4: BF068058
	s_cselect_b32 s61, 1, 2                                    // 000000002CF8: 853D8281
	s_mul_i32 s60, s60, s61                                    // 000000002CFC: 923C3D3C
	s_mov_b32 s90, s8                                          // 000000002D00: BEDA0008
	s_mov_b32 s91, s9                                          // 000000002D04: BEDB0009
	s_add_u32 s8, s60, s8                                      // 000000002D08: 8008083C
	s_addc_u32 s9, 0, s9                                       // 000000002D0C: 82090980
	v_lshrrev_b32_e32 v4, 4, v0                                // 000000002D10: 20080084
	v_mul_lo_u32 v20, 34, v4                                   // 000000002D14: D2850014 000208A2
	v_and_b32_e32 v4, 15, v0                                   // 000000002D1C: 2608008F
	v_mul_lo_u32 v5, 2, v4                                     // 000000002D20: D2850005 00020882
	v_add_u32_e32 v20, v5, v20                                 // 000000002D28: 68282905
	s_mul_i32 s60, s7, 0x88                                    // 000000002D2C: 923CFF07 00000088
	v_add_u32_e32 v20, s60, v20                                // 000000002D34: 6828283C
	v_lshlrev_b32_e32 v20, 2, v20                              // 000000002D38: 24282882
	v_and_b32_e32 v4, 31, v0                                   // 000000002D3C: 2608009F
	v_lshrrev_b32_e32 v4, 1, v4                                // 000000002D40: 20080881
	v_mul_lo_u32 v21, 34, v4                                   // 000000002D44: D2850015 000208A2
	v_lshrrev_b32_e32 v4, 5, v0                                // 000000002D4C: 20080085
	v_mul_lo_u32 v4, 8, v4                                     // 000000002D50: D2850004 00020888
	v_add_u32_e32 v21, v21, v4                                 // 000000002D58: 682A0915
	v_and_b32_e32 v5, 1, v0                                    // 000000002D5C: 260A0081
	v_add_u32_e32 v21, v5, v21                                 // 000000002D60: 682A2B05
	s_mul_i32 s60, s7, 2                                       // 000000002D64: 923C8207
	v_add_u32_e32 v21, s60, v21                                // 000000002D68: 682A2A3C
	v_lshlrev_b32_e32 v21, 2, v21                              // 000000002D6C: 242A2A82
	s_mul_i32 s60, s7, 0x220                                   // 000000002D70: 923CFF07 00000220
	s_add_u32 s48, 0, s60                                      // 000000002D78: 80303C80
	s_add_u32 s49, 0x880, s48                                  // 000000002D7C: 803130FF 00000880
	v_lshrrev_b32_e32 v4, 4, v0                                // 000000002D84: 20080084
	v_lshlrev_b32_e32 v5, 2, v4                                // 000000002D88: 240A0882
	v_and_b32_e32 v4, 15, v0                                   // 000000002D8C: 2608008F
	v_lshrrev_b32_e32 v6, 2, v4                                // 000000002D90: 200C0882
	v_lshlrev_b32_e32 v6, 5, v6                                // 000000002D94: 240C0C85
	v_add_u32_e32 v5, v6, v5                                   // 000000002D98: 680A0B06
	v_and_b32_e32 v4, 3, v0                                    // 000000002D9C: 26080083
	v_mul_u32_u24_e32 v6, 0x88, v4                             // 000000002DA0: 100C08FF 00000088
	v_add_u32_e32 v5, v6, v5                                   // 000000002DA8: 680A0B06
	v_lshlrev_b32_e32 v2, 2, v5                                // 000000002DAC: 24040A82
	s_waitcnt lgkmcnt(0)                                       // 000000002DB0: BF8CC07F
	s_mul_i32 s60, s2, 0x100                                   // 000000002DB4: 923CFF02 00000100
	s_mul_i32 s60, s60, s69                                    // 000000002DBC: 923C453C
	s_mul_i32 s61, s5, s72                                     // 000000002DC0: 923D4805
	s_add_u32 s60, s61, s60                                    // 000000002DC4: 803C3C3D
	s_add_u32 s24, s60, s24                                    // 000000002DC8: 8018183C
	s_addc_u32 s25, 0, s25                                     // 000000002DCC: 82191980
	s_lshr_b32 s60, s64, s88                                   // 000000002DD0: 8F3C5840
	s_mul_i32 s60, s4, s60                                     // 000000002DD4: 923C3C04
	s_lshr_b32 s60, s60, 7                                     // 000000002DD8: 8F3C873C
	s_mul_i32 s60, s60, 0x800                                  // 000000002DDC: 923CFF3C 00000800
	s_add_u32 s24, s60, s24                                    // 000000002DE4: 8018183C
	s_addc_u32 s25, 0, s25                                     // 000000002DE8: 82191980
	s_lshr_b32 s60, s69, s88                                   // 000000002DEC: 8F3C5845
	s_mul_i32 s60, s4, s60                                     // 000000002DF0: 923C3C04
	s_add_u32 s20, s60, s20                                    // 000000002DF4: 8014143C
	s_addc_u32 s21, 0, s21                                     // 000000002DF8: 82151580
	s_mul_i32 s60, s7, 16                                      // 000000002DFC: 923C9007
	s_mul_i32 s60, s60, s69                                    // 000000002E00: 923C453C
	v_lshlrev_b32_e32 v34, 4, v0                               // 000000002E04: 24440084
	v_add_u32_e32 v34, s60, v34                                // 000000002E08: 6844443C
	s_mul_i32 s60, 64, s69                                     // 000000002E0C: 923C45C0
	v_add_u32_e32 v35, s60, v34                                // 000000002E10: 6846443C
	v_add_u32_e32 v36, s60, v35                                // 000000002E14: 6848463C
	v_add_u32_e32 v37, s60, v36                                // 000000002E18: 684A483C
	s_mov_b32 s84, s24                                         // 000000002E1C: BED40018
	s_mov_b32 s85, s25                                         // 000000002E20: BED50019
	s_mov_b32 s86, s26                                         // 000000002E24: BED6001A
	s_mov_b32 s87, s27                                         // 000000002E28: BED7001B
	s_mul_i32 s60, s69, s65                                    // 000000002E2C: 923C4145
	s_add_u32 s84, s60, s84                                    // 000000002E30: 8054543C
	s_addc_u32 s85, 0, s85                                     // 000000002E34: 82555580
	v_lshrrev_b32_e32 v4, 4, v0                                // 000000002E38: 20080084
	v_lshlrev_b32_e32 v5, 2, v4                                // 000000002E3C: 240A0882
	v_and_b32_e32 v4, 15, v0                                   // 000000002E40: 2608008F
	v_lshrrev_b32_e32 v6, 2, v4                                // 000000002E44: 200C0882
	v_lshlrev_b32_e32 v6, 6, v6                                // 000000002E48: 240C0C86
	v_add_u32_e32 v5, v6, v5                                   // 000000002E4C: 680A0B06
	v_and_b32_e32 v4, 3, v0                                    // 000000002E50: 26080083
	v_add_u32_e32 v5, v4, v5                                   // 000000002E54: 680A0B04
	v_lshlrev_b32_e32 v22, 2, v5                               // 000000002E58: 242C0A82
	s_mul_i32 s60, s7, 16                                      // 000000002E5C: 923C9007
	s_mul_i32 s60, s60, 4                                      // 000000002E60: 923C843C
	v_add_u32_e32 v22, s60, v22                                // 000000002E64: 682C2C3C
	s_mul_i32 s60, s2, 0x100                                   // 000000002E68: 923CFF02 00000100
	s_mul_i32 s60, s60, 4                                      // 000000002E70: 923C843C
	s_mul_i32 s61, s5, s74                                     // 000000002E74: 923D4A05
	s_add_u32 s61, s61, s60                                    // 000000002E78: 803D3C3D
	s_add_u32 s32, s61, s32                                    // 000000002E7C: 8020203D
	s_addc_u32 s33, 0, s33                                     // 000000002E80: 82212180
	s_mov_b32 s57, 0x80                                        // 000000002E84: BEB900FF 00000080
	s_mov_b32 s58, 0x800                                       // 000000002E8C: BEBA00FF 00000800
	s_mov_b32 s83, s58                                         // 000000002E94: BED3003A
	s_mov_b32 s52, 0x7060302                                   // 000000002E98: BEB400FF 07060302
	s_mov_b32 s53, 0x400                                       // 000000002EA0: BEB500FF 00000400
	s_mov_b32 s54, 0x40100                                     // 000000002EA8: BEB600FF 00040100
	s_mov_b32 s55, 0x4020100                                   // 000000002EB0: BEB700FF 04020100
	s_mov_b32 s6, 0x3fb8aa3b                                   // 000000002EB8: BE8600FF 3FB8AA3B
	s_mov_b32 s78, 0xbd92220c                                  // 000000002EC0: BECE00FF BD92220C
	s_mov_b32 s79, 0xbd92220c                                  // 000000002EC8: BECF00FF BD92220C
	s_mov_b32 m0, s48                                          // 000000002ED0: BEFC0030
	v_mov_b32_e32 v1, 0xbfcc4231                               // 000000002ED4: 7E0202FF BFCC4231
	v_mov_b32_e32 v17, 0xffff0000                              // 000000002EDC: 7E2202FF FFFF0000
	v_mov_b32_e32 v18, 0x7fff0000                              // 000000002EE4: 7E2402FF 7FFF0000
	v_mov_b32_e32 v19, 0x7fff                                  // 000000002EEC: 7E2602FF 00007FFF
	s_waitcnt vmcnt(0) expcnt(0) lgkmcnt(0)                    // 000000002EF4: BF8C0000
	s_mul_i32 s60, s3, 16                                      // 000000002EF8: 923C9003
	s_mul_i32 s60, 4, s60                                      // 000000002EFC: 923C3C84
	s_add_u32 s40, s60, s40                                    // 000000002F00: 8028283C
	s_addc_u32 s41, 0, s41                                     // 000000002F04: 82292980
	v_and_b32_e32 v4, 15, v0                                   // 000000002F08: 2608008F
	v_lshlrev_b32_e32 v4, 2, v4                                // 000000002F0C: 24080882
	buffer_load_dword v72, v4, s[40:43], 0 offen               // 000000002F10: E0501000 800A4804
	v_lshrrev_b32_e32 v4, 5, v0                                // 000000002F18: 20080085
	v_xor_b32_e32 v5, 1, v4                                    // 000000002F1C: 2A0A0881
	v_readlane_b32 s82, v3, 0                                  // 000000002F20: D2890052 00010103
	s_and_b32 s82, s82, 0xffffff                               // 000000002F28: 8652FF52 00FFFFFF
	v_mul_lo_u32 v6, v5, s82                                   // 000000002F30: D2850006 0000A505
	v_readlane_b32 s82, v3, 1                                  // 000000002F38: D2890052 00010303
	s_and_b32 s82, s82, 0xffffff                               // 000000002F40: 8652FF52 00FFFFFF
	v_mul_lo_u32 v7, v4, s82                                   // 000000002F48: D2850007 0000A504
	v_add_u32_e32 v32, v6, v7                                  // 000000002F50: 68400F06
	v_mul_lo_u32 v32, v32, s68                                 // 000000002F54: D2850020 00008920
	v_readlane_b32 s82, v3, 2                                  // 000000002F5C: D2890052 00010503
	s_and_b32 s82, s82, 0xffffff                               // 000000002F64: 8652FF52 00FFFFFF
	v_mul_lo_u32 v6, v5, s82                                   // 000000002F6C: D2850006 0000A505
	v_readlane_b32 s82, v3, 3                                  // 000000002F74: D2890052 00010703
	s_and_b32 s82, s82, 0xffffff                               // 000000002F7C: 8652FF52 00FFFFFF
	v_mul_lo_u32 v7, v4, s82                                   // 000000002F84: D2850007 0000A504
	v_add_u32_e32 v33, v6, v7                                  // 000000002F8C: 68420F06
	v_mul_lo_u32 v33, v33, s68                                 // 000000002F90: D2850021 00008921
	v_and_b32_e32 v4, 31, v0                                   // 000000002F98: 2608009F
	v_lshlrev_b32_e32 v4, 2, v4                                // 000000002F9C: 24080882
	v_add_u32_e32 v32, v32, v4                                 // 000000002FA0: 68400920
	v_add_u32_e32 v33, v33, v4                                 // 000000002FA4: 68420921
	v_and_b32_e32 v28, 0xffffff, v28                           // 000000002FA8: 263838FF 00FFFFFF
	v_lshlrev_b32_e32 v28, 2, v28                              // 000000002FB0: 24383882
	s_lshl_b32 s3, s66, 2                                      // 000000002FB4: 8E038242
	buffer_load_dword v29, v28, s[28:31], 0 offen              // 000000002FB8: E0501000 80071D1C
	buffer_load_dword v24, v22, s[32:35], 0 offen              // 000000002FC0: E0501000 80081816
	s_mul_i32 s60, 4, s65                                      // 000000002FC8: 923C4184
	s_add_u32 s32, s60, s32                                    // 000000002FCC: 8020203C
	s_addc_u32 s33, 0, s33                                     // 000000002FD0: 82212180
	buffer_load_dword v26, v22, s[32:35], 0 offen              // 000000002FD4: E0501000 80081A16
	buffer_load_dword v32, s[20:23], 0 offen lds               // 000000002FDC: E0511000 80050020
	s_add_u32 m0, 0x100, s48                                   // 000000002FE4: 807C30FF 00000100
	buffer_load_dword v33, s[20:23], 0 offen lds               // 000000002FEC: E0511000 80050021
	s_add_u32 m0, 0, s49                                       // 000000002FF4: 807C3180
	s_add_u32 s20, s57, s20                                    // 000000002FF8: 80141439
	s_addc_u32 s21, 0, s21                                     // 000000002FFC: 82151580
	buffer_load_dword v32, s[20:23], 0 offen lds               // 000000003000: E0511000 80050020
	s_add_u32 m0, 0x100, s49                                   // 000000003008: 807C31FF 00000100
	buffer_load_dword v33, s[20:23], 0 offen lds               // 000000003010: E0511000 80050021
	s_add_u32 m0, 0, s48                                       // 000000003018: 807C3080
	s_add_u32 s20, s57, s20                                    // 00000000301C: 80141439
	s_addc_u32 s21, 0, s21                                     // 000000003020: 82151580
	buffer_load_dwordx4 a[16:19], v34, s[24:27], 0 offen       // 000000003024: E05C1000 80861022
	buffer_load_dwordx4 a[20:23], v34, s[24:27], 0 offen offset:1024// 00000000302C: E05C1400 80861422
	buffer_load_dwordx4 a[24:27], v35, s[24:27], 0 offen       // 000000003034: E05C1000 80861823
	buffer_load_dwordx4 a[28:31], v35, s[24:27], 0 offen offset:1024// 00000000303C: E05C1400 80861C23
	buffer_load_dwordx4 a[32:35], v36, s[24:27], 0 offen       // 000000003044: E05C1000 80862024
	buffer_load_dwordx4 a[36:39], v36, s[24:27], 0 offen offset:1024// 00000000304C: E05C1400 80862424
	buffer_load_dwordx4 a[40:43], v37, s[24:27], 0 offen       // 000000003054: E05C1000 80862825
	buffer_load_dwordx4 a[44:47], v37, s[24:27], 0 offen offset:1024// 00000000305C: E05C1400 80862C25
	s_add_u32 s24, s58, s24                                    // 000000003064: 8018183A
	s_addc_u32 s25, 0, s25                                     // 000000003068: 82191980
	s_waitcnt vmcnt(10)                                        // 00000000306C: BF8C0F7A
	s_barrier                                                  // 000000003070: BF8A0000
	ds_read_b128 a[0:3], v2                                    // 000000003074: DBFE0000 00000002
	ds_read_b128 a[4:7], v2 offset:64                          // 00000000307C: DBFE0040 04000002
	s_cmp_lt_i32 s7, 2                                         // 000000003084: BF048207
	s_cbranch_scc0 label_06B3                                  // 000000003088: BF84050D

000000000000308c <label_01A3>:
	s_waitcnt vmcnt(6) lgkmcnt(0)                              // 00000000308C: BF8C0076
	s_barrier                                                  // 000000003090: BF8A0000
	v_mfma_f32_16x16x32_fp8_fp8 v[40:43], a[16:17], a[0:1], v[40:43]// 000000003094: D3F30028 1CA20110
	v_mfma_f32_16x16x32_fp8_fp8 v[40:43], a[18:19], a[2:3], v[40:43]// 00000000309C: D3F30028 1CA20512
	buffer_load_dwordx4 a[48:51], v34, s[84:87], 0 offen       // 0000000030A4: E05C1000 80953022
	v_mfma_f32_16x16x32_fp8_fp8 v[40:43], a[20:21], a[4:5], v[40:43]// 0000000030AC: D3F30028 1CA20914
	v_mfma_f32_16x16x32_fp8_fp8 v[40:43], a[22:23], a[6:7], v[40:43]// 0000000030B4: D3F30028 1CA20D16
	s_waitcnt vmcnt(5)                                         // 0000000030BC: BF8C0F75
	v_mfma_f32_16x16x32_fp8_fp8 v[44:47], a[24:25], a[0:1], v[44:47]// 0000000030C0: D3F3002C 1CB20118
	v_mfma_f32_16x16x32_fp8_fp8 v[44:47], a[26:27], a[2:3], v[44:47]// 0000000030C8: D3F3002C 1CB2051A
	buffer_load_dwordx4 a[52:55], v34, s[84:87], 0 offen offset:1024// 0000000030D0: E05C1400 80953422
	v_mfma_f32_16x16x32_fp8_fp8 v[44:47], a[28:29], a[4:5], v[44:47]// 0000000030D8: D3F3002C 1CB2091C
	v_mfma_f32_16x16x32_fp8_fp8 v[44:47], a[30:31], a[6:7], v[44:47]// 0000000030E0: D3F3002C 1CB20D1E
	s_waitcnt vmcnt(4)                                         // 0000000030E8: BF8C0F74
	v_mfma_f32_16x16x32_fp8_fp8 v[48:51], a[32:33], a[0:1], v[48:51]// 0000000030EC: D3F30030 1CC20120
	v_mfma_f32_16x16x32_fp8_fp8 v[48:51], a[34:35], a[2:3], v[48:51]// 0000000030F4: D3F30030 1CC20522
	buffer_load_dwordx4 a[56:59], v35, s[84:87], 0 offen       // 0000000030FC: E05C1000 80953823
	v_mfma_f32_16x16x32_fp8_fp8 v[48:51], a[36:37], a[4:5], v[48:51]// 000000003104: D3F30030 1CC20924
	v_mfma_f32_16x16x32_fp8_fp8 v[48:51], a[38:39], a[6:7], v[48:51]// 00000000310C: D3F30030 1CC20D26
	s_waitcnt vmcnt(3)                                         // 000000003114: BF8C0F73
	v_mfma_f32_16x16x32_fp8_fp8 v[52:55], a[40:41], a[0:1], v[52:55]// 000000003118: D3F30034 1CD20128
	v_mfma_f32_16x16x32_fp8_fp8 v[52:55], a[42:43], a[2:3], v[52:55]// 000000003120: D3F30034 1CD2052A
	buffer_load_dwordx4 a[60:63], v35, s[84:87], 0 offen offset:1024// 000000003128: E05C1400 80953C23
	s_add_u32 s60, 0x80, s80                                   // 000000003130: 803C50FF 00000080
	s_cmp_lt_u32 s60, s81                                      // 000000003138: BF0A513C
	s_cselect_b32 s83, s83, 0                                  // 00000000313C: 85538053
	v_mfma_f32_16x16x32_fp8_fp8 v[52:55], a[44:45], a[4:5], v[52:55]// 000000003140: D3F30034 1CD2092C
	v_mfma_f32_16x16x32_fp8_fp8 v[52:55], a[46:47], a[6:7], v[52:55]// 000000003148: D3F30034 1CD20D2E
	buffer_load_dwordx4 a[64:67], v36, s[84:87], 0 offen       // 000000003150: E05C1000 80954024
	buffer_load_dwordx4 a[68:71], v36, s[84:87], 0 offen offset:1024// 000000003158: E05C1400 80954424
	buffer_load_dwordx4 a[72:75], v37, s[84:87], 0 offen       // 000000003160: E05C1000 80954825
	buffer_load_dwordx4 a[76:79], v37, s[84:87], 0 offen offset:1024// 000000003168: E05C1400 80954C25
	buffer_load_dword v32, s[20:23], 0 offen lds               // 000000003170: E0511000 80050020
	s_add_u32 m0, 0x100, s48                                   // 000000003178: 807C30FF 00000100
	buffer_load_dword v33, s[20:23], 0 offen lds               // 000000003180: E0511000 80050021
	s_add_u32 m0, 0, s49                                       // 000000003188: 807C3180
	s_waitcnt vmcnt(2)                                         // 00000000318C: BF8C0F72
	v_mfma_f32_16x16x32_fp8_fp8 v[56:59], a[48:49], a[0:1], v[56:59]// 000000003190: D3F30038 1CE20130
	v_mfma_f32_16x16x32_fp8_fp8 v[56:59], a[50:51], a[2:3], v[56:59]// 000000003198: D3F30038 1CE20532
	buffer_load_dwordx4 a[16:19], v34, s[24:27], 0 offen       // 0000000031A0: E05C1000 80861022
	v_mfma_f32_16x16x32_fp8_fp8 v[56:59], a[52:53], a[4:5], v[56:59]// 0000000031A8: D3F30038 1CE20934
	v_mfma_f32_16x16x32_fp8_fp8 v[56:59], a[54:55], a[6:7], v[56:59]// 0000000031B0: D3F30038 1CE20D36
	ds_read_b128 a[8:11], v2 offset:2176                       // 0000000031B8: DBFE0880 08000002
	ds_read_b128 a[12:15], v2 offset:2240                      // 0000000031C0: DBFE08C0 0C000002
	v_mfma_f32_16x16x32_fp8_fp8 v[60:63], a[56:57], a[0:1], v[60:63]// 0000000031C8: D3F3003C 1CF20138
	v_mfma_f32_16x16x32_fp8_fp8 v[60:63], a[58:59], a[2:3], v[60:63]// 0000000031D0: D3F3003C 1CF2053A
	buffer_load_dwordx4 a[20:23], v34, s[24:27], 0 offen offset:1024// 0000000031D8: E05C1400 80861422
	v_mfma_f32_16x16x32_fp8_fp8 v[60:63], a[60:61], a[4:5], v[60:63]// 0000000031E0: D3F3003C 1CF2093C
	v_mfma_f32_16x16x32_fp8_fp8 v[60:63], a[62:63], a[6:7], v[60:63]// 0000000031E8: D3F3003C 1CF20D3E
	v_mfma_f32_16x16x32_fp8_fp8 v[64:67], a[64:65], a[0:1], v[64:67]// 0000000031F0: D3F30040 1D020140
	v_mfma_f32_16x16x32_fp8_fp8 v[64:67], a[66:67], a[2:3], v[64:67]// 0000000031F8: D3F30040 1D020542
	buffer_load_dwordx4 a[24:27], v35, s[24:27], 0 offen       // 000000003200: E05C1000 80861823
	v_mfma_f32_16x16x32_fp8_fp8 v[64:67], a[68:69], a[4:5], v[64:67]// 000000003208: D3F30040 1D020944
	s_add_u32 s60, 0x180, s80                                  // 000000003210: 803C50FF 00000180
	s_cmp_lt_u32 s60, s81                                      // 000000003218: BF0A513C
	s_cselect_b32 s57, s57, 0                                  // 00000000321C: 85398039
	v_mfma_f32_16x16x32_fp8_fp8 v[64:67], a[70:71], a[6:7], v[64:67]// 000000003220: D3F30040 1D020D46
	s_add_u32 s60, 0x100, s80                                  // 000000003228: 803C50FF 00000100
	s_cmp_lt_u32 s60, s81                                      // 000000003230: BF0A513C
	s_cselect_b32 s58, s58, 0                                  // 000000003234: 853A803A
	v_mfma_f32_16x16x32_fp8_fp8 v[68:71], a[72:73], a[0:1], v[68:71]// 000000003238: D3F30044 1D120148
	v_mfma_f32_16x16x32_fp8_fp8 v[68:71], a[74:75], a[2:3], v[68:71]// 000000003240: D3F30044 1D12054A
	buffer_load_dwordx4 a[28:31], v35, s[24:27], 0 offen offset:1024// 000000003248: E05C1400 80861C23
	s_add_u32 s20, s57, s20                                    // 000000003250: 80141439
	s_addc_u32 s21, 0, s21                                     // 000000003254: 82151580
	v_mfma_f32_16x16x32_fp8_fp8 v[68:71], a[76:77], a[4:5], v[68:71]// 000000003258: D3F30044 1D12094C
	s_add_u32 s84, s83, s84                                    // 000000003260: 80545453
	s_addc_u32 s85, 0, s85                                     // 000000003264: 82555580
	v_mfma_f32_16x16x32_fp8_fp8 v[68:71], a[78:79], a[6:7], v[68:71]// 000000003268: D3F30044 1D120D4E
	buffer_load_dwordx4 a[32:35], v36, s[24:27], 0 offen       // 000000003270: E05C1000 80862024
	buffer_load_dwordx4 a[36:39], v36, s[24:27], 0 offen offset:1024// 000000003278: E05C1400 80862424
	buffer_load_dwordx4 a[40:43], v37, s[24:27], 0 offen       // 000000003280: E05C1000 80862825
	buffer_load_dwordx4 a[44:47], v37, s[24:27], 0 offen offset:1024// 000000003288: E05C1400 80862C25
	s_add_u32 s24, s58, s24                                    // 000000003290: 8018183A
	s_addc_u32 s25, 0, s25                                     // 000000003294: 82191980
	s_addk_i32 s80, 0x80                                       // 000000003298: B7500080
	s_cmp_lt_i32 s80, s81                                      // 00000000329C: BF045150
	s_cbranch_scc0 label_02B0                                  // 0000000032A0: BF840087
	s_waitcnt vmcnt(6) lgkmcnt(0)                              // 0000000032A4: BF8C0076
	s_barrier                                                  // 0000000032A8: BF8A0000
	v_mfma_f32_16x16x32_fp8_fp8 v[40:43], a[16:17], a[8:9], v[40:43]// 0000000032AC: D3F30028 1CA21110
	v_mfma_f32_16x16x32_fp8_fp8 v[40:43], a[18:19], a[10:11], v[40:43]// 0000000032B4: D3F30028 1CA21512
	buffer_load_dwordx4 a[48:51], v34, s[84:87], 0 offen       // 0000000032BC: E05C1000 80953022
	v_mfma_f32_16x16x32_fp8_fp8 v[40:43], a[20:21], a[12:13], v[40:43]// 0000000032C4: D3F30028 1CA21914
	v_mfma_f32_16x16x32_fp8_fp8 v[40:43], a[22:23], a[14:15], v[40:43]// 0000000032CC: D3F30028 1CA21D16
	s_waitcnt vmcnt(5)                                         // 0000000032D4: BF8C0F75
	v_mfma_f32_16x16x32_fp8_fp8 v[44:47], a[24:25], a[8:9], v[44:47]// 0000000032D8: D3F3002C 1CB21118
	v_mfma_f32_16x16x32_fp8_fp8 v[44:47], a[26:27], a[10:11], v[44:47]// 0000000032E0: D3F3002C 1CB2151A
	buffer_load_dwordx4 a[52:55], v34, s[84:87], 0 offen offset:1024// 0000000032E8: E05C1400 80953422
	v_mfma_f32_16x16x32_fp8_fp8 v[44:47], a[28:29], a[12:13], v[44:47]// 0000000032F0: D3F3002C 1CB2191C
	v_mfma_f32_16x16x32_fp8_fp8 v[44:47], a[30:31], a[14:15], v[44:47]// 0000000032F8: D3F3002C 1CB21D1E
	s_waitcnt vmcnt(4)                                         // 000000003300: BF8C0F74
	v_mfma_f32_16x16x32_fp8_fp8 v[48:51], a[32:33], a[8:9], v[48:51]// 000000003304: D3F30030 1CC21120
	v_mfma_f32_16x16x32_fp8_fp8 v[48:51], a[34:35], a[10:11], v[48:51]// 00000000330C: D3F30030 1CC21522
	buffer_load_dwordx4 a[56:59], v35, s[84:87], 0 offen       // 000000003314: E05C1000 80953823
	v_mfma_f32_16x16x32_fp8_fp8 v[48:51], a[36:37], a[12:13], v[48:51]// 00000000331C: D3F30030 1CC21924
	v_mfma_f32_16x16x32_fp8_fp8 v[48:51], a[38:39], a[14:15], v[48:51]// 000000003324: D3F30030 1CC21D26
	s_waitcnt vmcnt(3)                                         // 00000000332C: BF8C0F73
	v_mfma_f32_16x16x32_fp8_fp8 v[52:55], a[40:41], a[8:9], v[52:55]// 000000003330: D3F30034 1CD21128
	v_mfma_f32_16x16x32_fp8_fp8 v[52:55], a[42:43], a[10:11], v[52:55]// 000000003338: D3F30034 1CD2152A
	buffer_load_dwordx4 a[60:63], v35, s[84:87], 0 offen offset:1024// 000000003340: E05C1400 80953C23
	s_add_u32 s60, 0x80, s80                                   // 000000003348: 803C50FF 00000080
	s_cmp_lt_u32 s60, s81                                      // 000000003350: BF0A513C
	s_cselect_b32 s83, s83, 0                                  // 000000003354: 85538053
	v_mfma_f32_16x16x32_fp8_fp8 v[52:55], a[44:45], a[12:13], v[52:55]// 000000003358: D3F30034 1CD2192C
	v_mfma_f32_16x16x32_fp8_fp8 v[52:55], a[46:47], a[14:15], v[52:55]// 000000003360: D3F30034 1CD21D2E
	buffer_load_dwordx4 a[64:67], v36, s[84:87], 0 offen       // 000000003368: E05C1000 80954024
	buffer_load_dwordx4 a[68:71], v36, s[84:87], 0 offen offset:1024// 000000003370: E05C1400 80954424
	buffer_load_dwordx4 a[72:75], v37, s[84:87], 0 offen       // 000000003378: E05C1000 80954825
	buffer_load_dwordx4 a[76:79], v37, s[84:87], 0 offen offset:1024// 000000003380: E05C1400 80954C25
	buffer_load_dword v32, s[20:23], 0 offen lds               // 000000003388: E0511000 80050020
	s_add_u32 m0, 0x100, s49                                   // 000000003390: 807C31FF 00000100
	buffer_load_dword v33, s[20:23], 0 offen lds               // 000000003398: E0511000 80050021
	s_add_u32 m0, 0, s48                                       // 0000000033A0: 807C3080
	s_waitcnt vmcnt(2)                                         // 0000000033A4: BF8C0F72
	v_mfma_f32_16x16x32_fp8_fp8 v[56:59], a[48:49], a[8:9], v[56:59]// 0000000033A8: D3F30038 1CE21130
	v_mfma_f32_16x16x32_fp8_fp8 v[56:59], a[50:51], a[10:11], v[56:59]// 0000000033B0: D3F30038 1CE21532
	buffer_load_dwordx4 a[16:19], v34, s[24:27], 0 offen       // 0000000033B8: E05C1000 80861022
	v_mfma_f32_16x16x32_fp8_fp8 v[56:59], a[52:53], a[12:13], v[56:59]// 0000000033C0: D3F30038 1CE21934
	v_mfma_f32_16x16x32_fp8_fp8 v[56:59], a[54:55], a[14:15], v[56:59]// 0000000033C8: D3F30038 1CE21D36
	ds_read_b128 a[0:3], v2                                    // 0000000033D0: DBFE0000 00000002
	ds_read_b128 a[4:7], v2 offset:64                          // 0000000033D8: DBFE0040 04000002
	v_mfma_f32_16x16x32_fp8_fp8 v[60:63], a[56:57], a[8:9], v[60:63]// 0000000033E0: D3F3003C 1CF21138
	v_mfma_f32_16x16x32_fp8_fp8 v[60:63], a[58:59], a[10:11], v[60:63]// 0000000033E8: D3F3003C 1CF2153A
	buffer_load_dwordx4 a[20:23], v34, s[24:27], 0 offen offset:1024// 0000000033F0: E05C1400 80861422
	v_mfma_f32_16x16x32_fp8_fp8 v[60:63], a[60:61], a[12:13], v[60:63]// 0000000033F8: D3F3003C 1CF2193C
	v_mfma_f32_16x16x32_fp8_fp8 v[60:63], a[62:63], a[14:15], v[60:63]// 000000003400: D3F3003C 1CF21D3E
	v_mfma_f32_16x16x32_fp8_fp8 v[64:67], a[64:65], a[8:9], v[64:67]// 000000003408: D3F30040 1D021140
	v_mfma_f32_16x16x32_fp8_fp8 v[64:67], a[66:67], a[10:11], v[64:67]// 000000003410: D3F30040 1D021542
	buffer_load_dwordx4 a[24:27], v35, s[24:27], 0 offen       // 000000003418: E05C1000 80861823
	v_mfma_f32_16x16x32_fp8_fp8 v[64:67], a[68:69], a[12:13], v[64:67]// 000000003420: D3F30040 1D021944
	s_add_u32 s60, 0x180, s80                                  // 000000003428: 803C50FF 00000180
	s_cmp_lt_u32 s60, s81                                      // 000000003430: BF0A513C
	s_cselect_b32 s57, s57, 0                                  // 000000003434: 85398039
	v_mfma_f32_16x16x32_fp8_fp8 v[64:67], a[70:71], a[14:15], v[64:67]// 000000003438: D3F30040 1D021D46
	s_add_u32 s60, 0x100, s80                                  // 000000003440: 803C50FF 00000100
	s_cmp_lt_u32 s60, s81                                      // 000000003448: BF0A513C
	s_cselect_b32 s58, s58, 0                                  // 00000000344C: 853A803A
	v_mfma_f32_16x16x32_fp8_fp8 v[68:71], a[72:73], a[8:9], v[68:71]// 000000003450: D3F30044 1D121148
	v_mfma_f32_16x16x32_fp8_fp8 v[68:71], a[74:75], a[10:11], v[68:71]// 000000003458: D3F30044 1D12154A
	buffer_load_dwordx4 a[28:31], v35, s[24:27], 0 offen offset:1024// 000000003460: E05C1400 80861C23
	s_add_u32 s20, s57, s20                                    // 000000003468: 80141439
	s_addc_u32 s21, 0, s21                                     // 00000000346C: 82151580
	v_mfma_f32_16x16x32_fp8_fp8 v[68:71], a[76:77], a[12:13], v[68:71]// 000000003470: D3F30044 1D12194C
	s_add_u32 s84, s83, s84                                    // 000000003478: 80545453
	s_addc_u32 s85, 0, s85                                     // 00000000347C: 82555580
	v_mfma_f32_16x16x32_fp8_fp8 v[68:71], a[78:79], a[14:15], v[68:71]// 000000003480: D3F30044 1D121D4E
	buffer_load_dwordx4 a[32:35], v36, s[24:27], 0 offen       // 000000003488: E05C1000 80862024
	buffer_load_dwordx4 a[36:39], v36, s[24:27], 0 offen offset:1024// 000000003490: E05C1400 80862424
	buffer_load_dwordx4 a[40:43], v37, s[24:27], 0 offen       // 000000003498: E05C1000 80862825
	buffer_load_dwordx4 a[44:47], v37, s[24:27], 0 offen offset:1024// 0000000034A0: E05C1400 80862C25
	s_add_u32 s24, s58, s24                                    // 0000000034A8: 8018183A
	s_addc_u32 s25, 0, s25                                     // 0000000034AC: 82191980
	s_addk_i32 s80, 0x80                                       // 0000000034B0: B7500080
	s_cmp_lt_i32 s80, s81                                      // 0000000034B4: BF045150
	s_cbranch_scc0 label_02B0                                  // 0000000034B8: BF840001
	s_branch label_01A3                                        // 0000000034BC: BF82FEF3

00000000000034c0 <label_02B0>:
	v_mul_f32_dpp v40, v24, v40 row_newbcast:0 row_mask:0xf bank_mask:0xf// 0000000034C0: 0A5050FA FF015018
	v_mul_f32_dpp v41, v24, v41 row_newbcast:1 row_mask:0xf bank_mask:0xf// 0000000034C8: 0A5252FA FF015118
	v_mul_f32_dpp v42, v24, v42 row_newbcast:2 row_mask:0xf bank_mask:0xf// 0000000034D0: 0A5454FA FF015218
	v_mul_f32_dpp v43, v24, v43 row_newbcast:3 row_mask:0xf bank_mask:0xf// 0000000034D8: 0A5656FA FF015318
	v_mul_f32_dpp v44, v24, v44 row_newbcast:4 row_mask:0xf bank_mask:0xf// 0000000034E0: 0A5858FA FF015418
	v_mul_f32_dpp v45, v24, v45 row_newbcast:5 row_mask:0xf bank_mask:0xf// 0000000034E8: 0A5A5AFA FF015518
	v_mul_f32_dpp v46, v24, v46 row_newbcast:6 row_mask:0xf bank_mask:0xf// 0000000034F0: 0A5C5CFA FF015618
	v_mul_f32_dpp v47, v24, v47 row_newbcast:7 row_mask:0xf bank_mask:0xf// 0000000034F8: 0A5E5EFA FF015718
	v_mul_f32_dpp v48, v24, v48 row_newbcast:8 row_mask:0xf bank_mask:0xf// 000000003500: 0A6060FA FF015818
	v_mul_f32_dpp v49, v24, v49 row_newbcast:9 row_mask:0xf bank_mask:0xf// 000000003508: 0A6262FA FF015918
	v_mul_f32_dpp v50, v24, v50 row_newbcast:10 row_mask:0xf bank_mask:0xf// 000000003510: 0A6464FA FF015A18
	v_mul_f32_dpp v51, v24, v51 row_newbcast:11 row_mask:0xf bank_mask:0xf// 000000003518: 0A6666FA FF015B18
	v_mul_f32_dpp v52, v24, v52 row_newbcast:12 row_mask:0xf bank_mask:0xf// 000000003520: 0A6868FA FF015C18
	v_mul_f32_dpp v53, v24, v53 row_newbcast:13 row_mask:0xf bank_mask:0xf// 000000003528: 0A6A6AFA FF015D18
	v_mul_f32_dpp v54, v24, v54 row_newbcast:14 row_mask:0xf bank_mask:0xf// 000000003530: 0A6C6CFA FF015E18
	v_mul_f32_dpp v55, v24, v55 row_newbcast:15 row_mask:0xf bank_mask:0xf// 000000003538: 0A6E6EFA FF015F18
	v_mul_f32_dpp v56, v26, v56 row_newbcast:0 row_mask:0xf bank_mask:0xf// 000000003540: 0A7070FA FF01501A
	v_mul_f32_dpp v57, v26, v57 row_newbcast:1 row_mask:0xf bank_mask:0xf// 000000003548: 0A7272FA FF01511A
	v_mul_f32_dpp v58, v26, v58 row_newbcast:2 row_mask:0xf bank_mask:0xf// 000000003550: 0A7474FA FF01521A
	v_mul_f32_dpp v59, v26, v59 row_newbcast:3 row_mask:0xf bank_mask:0xf// 000000003558: 0A7676FA FF01531A
	v_mul_f32_dpp v60, v26, v60 row_newbcast:4 row_mask:0xf bank_mask:0xf// 000000003560: 0A7878FA FF01541A
	v_mul_f32_dpp v61, v26, v61 row_newbcast:5 row_mask:0xf bank_mask:0xf// 000000003568: 0A7A7AFA FF01551A
	v_mul_f32_dpp v62, v26, v62 row_newbcast:6 row_mask:0xf bank_mask:0xf// 000000003570: 0A7C7CFA FF01561A
	v_mul_f32_dpp v63, v26, v63 row_newbcast:7 row_mask:0xf bank_mask:0xf// 000000003578: 0A7E7EFA FF01571A
	v_mul_f32_dpp v64, v26, v64 row_newbcast:8 row_mask:0xf bank_mask:0xf// 000000003580: 0A8080FA FF01581A
	v_mul_f32_dpp v65, v26, v65 row_newbcast:9 row_mask:0xf bank_mask:0xf// 000000003588: 0A8282FA FF01591A
	v_mul_f32_dpp v66, v26, v66 row_newbcast:10 row_mask:0xf bank_mask:0xf// 000000003590: 0A8484FA FF015A1A
	v_mul_f32_dpp v67, v26, v67 row_newbcast:11 row_mask:0xf bank_mask:0xf// 000000003598: 0A8686FA FF015B1A
	v_mul_f32_dpp v68, v26, v68 row_newbcast:12 row_mask:0xf bank_mask:0xf// 0000000035A0: 0A8888FA FF015C1A
	v_mul_f32_dpp v69, v26, v69 row_newbcast:13 row_mask:0xf bank_mask:0xf// 0000000035A8: 0A8A8AFA FF015D1A
	v_mul_f32_dpp v70, v26, v70 row_newbcast:14 row_mask:0xf bank_mask:0xf// 0000000035B0: 0A8C8CFA FF015E1A
	v_mul_f32_dpp v71, v26, v71 row_newbcast:15 row_mask:0xf bank_mask:0xf// 0000000035B8: 0A8E8EFA FF015F1A
	v_mul_f32_e32 v29, v29, v72                                // 0000000035C0: 0A3A911D
	v_mov_b32_e32 v4, v29                                      // 0000000035C4: 7E08031D
	v_mov_b32_e32 v5, v4                                       // 0000000035C8: 7E0A0304
	v_pk_mul_f32 v[40:41], v[4:5], v[40:41]                    // 0000000035CC: D3B14028 18025104
	v_pk_mul_f32 v[56:57], v[4:5], v[56:57]                    // 0000000035D4: D3B14038 18027104
	v_pk_mul_f32 v[42:43], v[4:5], v[42:43]                    // 0000000035DC: D3B1402A 18025504
	v_pk_mul_f32 v[58:59], v[4:5], v[58:59]                    // 0000000035E4: D3B1403A 18027504
	v_pk_mul_f32 v[44:45], v[4:5], v[44:45]                    // 0000000035EC: D3B1402C 18025904
	v_pk_mul_f32 v[60:61], v[4:5], v[60:61]                    // 0000000035F4: D3B1403C 18027904
	v_pk_mul_f32 v[46:47], v[4:5], v[46:47]                    // 0000000035FC: D3B1402E 18025D04
	v_pk_mul_f32 v[62:63], v[4:5], v[62:63]                    // 000000003604: D3B1403E 18027D04
	v_pk_mul_f32 v[48:49], v[4:5], v[48:49]                    // 00000000360C: D3B14030 18026104
	v_pk_mul_f32 v[64:65], v[4:5], v[64:65]                    // 000000003614: D3B14040 18028104
	v_pk_mul_f32 v[50:51], v[4:5], v[50:51]                    // 00000000361C: D3B14032 18026504
	v_pk_mul_f32 v[66:67], v[4:5], v[66:67]                    // 000000003624: D3B14042 18028504
	v_pk_mul_f32 v[52:53], v[4:5], v[52:53]                    // 00000000362C: D3B14034 18026904
	v_pk_mul_f32 v[68:69], v[4:5], v[68:69]                    // 000000003634: D3B14044 18028904
	v_pk_mul_f32 v[54:55], v[4:5], v[54:55]                    // 00000000363C: D3B14036 18026D04
	v_pk_mul_f32 v[70:71], v[4:5], v[70:71]                    // 000000003644: D3B14046 18028D04
	s_cmp_eq_u32 s88, 0                                        // 00000000364C: BF068058
	s_cbranch_scc0 label_053A                                  // 000000003650: BF840225
	s_cmp_eq_u32 s89, 0                                        // 000000003654: BF068059
	s_cbranch_scc1 label_03BC                                  // 000000003658: BF8500A5
	v_mov_b32_e32 v8, v1                                       // 00000000365C: 7E100301
	v_mov_b32_e32 v9, v1                                       // 000000003660: 7E120301
	s_mov_b32 s60, s6                                          // 000000003664: BEBC0006
	s_mov_b32 s61, s6                                          // 000000003668: BEBD0006
	v_pk_mul_f32 v[4:5], v[40:41], v[40:41]                    // 00000000366C: D3B14004 18025128
	v_pk_mul_f32 v[6:7], v[42:43], v[42:43]                    // 000000003674: D3B14006 1802552A
	v_pk_fma_f32 v[4:5], v[4:5], s[78:79], v[8:9]              // 00000000367C: D3B04004 1C209D04
	v_pk_fma_f32 v[6:7], v[6:7], s[78:79], v[8:9]              // 000000003684: D3B04006 1C209D06
	v_pk_mul_f32 v[4:5], v[4:5], v[40:41]                      // 00000000368C: D3B14004 18025104
	v_pk_mul_f32 v[6:7], v[6:7], v[42:43]                      // 000000003694: D3B14006 18025506
	v_pk_mul_f32 v[4:5], v[4:5], s[60:61]                      // 00000000369C: D3B14004 18007904
	v_pk_mul_f32 v[6:7], v[6:7], s[60:61]                      // 0000000036A4: D3B14006 18007906
	v_exp_f32_e32 v4, v4                                       // 0000000036AC: 7E084104
	v_exp_f32_e32 v5, v5                                       // 0000000036B0: 7E0A4105
	v_exp_f32_e32 v6, v6                                       // 0000000036B4: 7E0C4106
	v_exp_f32_e32 v7, v7                                       // 0000000036B8: 7E0E4107
	v_add_f32_e64 v4, v4, 1.0                                  // 0000000036BC: D1010004 0001E504
	v_add_f32_e64 v5, v5, 1.0                                  // 0000000036C4: D1010005 0001E505
	v_add_f32_e64 v6, v6, 1.0                                  // 0000000036CC: D1010006 0001E506
	v_add_f32_e64 v7, v7, 1.0                                  // 0000000036D4: D1010007 0001E507
	v_rcp_f32_e32 v4, v4                                       // 0000000036DC: 7E084504
	v_rcp_f32_e32 v5, v5                                       // 0000000036E0: 7E0A4505
	v_rcp_f32_e32 v6, v6                                       // 0000000036E4: 7E0C4506
	v_rcp_f32_e32 v7, v7                                       // 0000000036E8: 7E0E4507
	v_mul_f32_e32 v40, v40, v4                                 // 0000000036EC: 0A500928
	v_mul_f32_e32 v41, v41, v5                                 // 0000000036F0: 0A520B29
	v_mul_f32_e32 v42, v42, v6                                 // 0000000036F4: 0A540D2A
	v_mul_f32_e32 v43, v43, v7                                 // 0000000036F8: 0A560F2B
	v_mul_f32_e32 v40, v40, v56                                // 0000000036FC: 0A507128
	v_mul_f32_e32 v41, v41, v57                                // 000000003700: 0A527329
	v_mul_f32_e32 v42, v42, v58                                // 000000003704: 0A54752A
	v_mul_f32_e32 v43, v43, v59                                // 000000003708: 0A56772B
	v_pk_mul_f32 v[4:5], v[44:45], v[44:45]                    // 00000000370C: D3B14004 1802592C
	v_pk_mul_f32 v[6:7], v[46:47], v[46:47]                    // 000000003714: D3B14006 18025D2E
	v_pk_fma_f32 v[4:5], v[4:5], s[78:79], v[8:9]              // 00000000371C: D3B04004 1C209D04
	v_pk_fma_f32 v[6:7], v[6:7], s[78:79], v[8:9]              // 000000003724: D3B04006 1C209D06
	v_pk_mul_f32 v[4:5], v[4:5], v[44:45]                      // 00000000372C: D3B14004 18025904
	v_pk_mul_f32 v[6:7], v[6:7], v[46:47]                      // 000000003734: D3B14006 18025D06
	v_pk_mul_f32 v[4:5], v[4:5], s[60:61]                      // 00000000373C: D3B14004 18007904
	v_pk_mul_f32 v[6:7], v[6:7], s[60:61]                      // 000000003744: D3B14006 18007906
	v_exp_f32_e32 v4, v4                                       // 00000000374C: 7E084104
	v_exp_f32_e32 v5, v5                                       // 000000003750: 7E0A4105
	v_exp_f32_e32 v6, v6                                       // 000000003754: 7E0C4106
	v_exp_f32_e32 v7, v7                                       // 000000003758: 7E0E4107
	v_add_f32_e64 v4, v4, 1.0                                  // 00000000375C: D1010004 0001E504
	v_add_f32_e64 v5, v5, 1.0                                  // 000000003764: D1010005 0001E505
	v_add_f32_e64 v6, v6, 1.0                                  // 00000000376C: D1010006 0001E506
	v_add_f32_e64 v7, v7, 1.0                                  // 000000003774: D1010007 0001E507
	v_rcp_f32_e32 v4, v4                                       // 00000000377C: 7E084504
	v_rcp_f32_e32 v5, v5                                       // 000000003780: 7E0A4505
	v_rcp_f32_e32 v6, v6                                       // 000000003784: 7E0C4506
	v_rcp_f32_e32 v7, v7                                       // 000000003788: 7E0E4507
	v_mul_f32_e32 v44, v44, v4                                 // 00000000378C: 0A58092C
	v_mul_f32_e32 v45, v45, v5                                 // 000000003790: 0A5A0B2D
	v_mul_f32_e32 v46, v46, v6                                 // 000000003794: 0A5C0D2E
	v_mul_f32_e32 v47, v47, v7                                 // 000000003798: 0A5E0F2F
	v_mul_f32_e32 v44, v44, v60                                // 00000000379C: 0A58792C
	v_mul_f32_e32 v45, v45, v61                                // 0000000037A0: 0A5A7B2D
	v_mul_f32_e32 v46, v46, v62                                // 0000000037A4: 0A5C7D2E
	v_mul_f32_e32 v47, v47, v63                                // 0000000037A8: 0A5E7F2F
	v_pk_mul_f32 v[4:5], v[48:49], v[48:49]                    // 0000000037AC: D3B14004 18026130
	v_pk_mul_f32 v[6:7], v[50:51], v[50:51]                    // 0000000037B4: D3B14006 18026532
	v_pk_fma_f32 v[4:5], v[4:5], s[78:79], v[8:9]              // 0000000037BC: D3B04004 1C209D04
	v_pk_fma_f32 v[6:7], v[6:7], s[78:79], v[8:9]              // 0000000037C4: D3B04006 1C209D06
	v_pk_mul_f32 v[4:5], v[4:5], v[48:49]                      // 0000000037CC: D3B14004 18026104
	v_pk_mul_f32 v[6:7], v[6:7], v[50:51]                      // 0000000037D4: D3B14006 18026506
	v_pk_mul_f32 v[4:5], v[4:5], s[60:61]                      // 0000000037DC: D3B14004 18007904
	v_pk_mul_f32 v[6:7], v[6:7], s[60:61]                      // 0000000037E4: D3B14006 18007906
	v_exp_f32_e32 v4, v4                                       // 0000000037EC: 7E084104
	v_exp_f32_e32 v5, v5                                       // 0000000037F0: 7E0A4105
	v_exp_f32_e32 v6, v6                                       // 0000000037F4: 7E0C4106
	v_exp_f32_e32 v7, v7                                       // 0000000037F8: 7E0E4107
	v_add_f32_e64 v4, v4, 1.0                                  // 0000000037FC: D1010004 0001E504
	v_add_f32_e64 v5, v5, 1.0                                  // 000000003804: D1010005 0001E505
	v_add_f32_e64 v6, v6, 1.0                                  // 00000000380C: D1010006 0001E506
	v_add_f32_e64 v7, v7, 1.0                                  // 000000003814: D1010007 0001E507
	v_rcp_f32_e32 v4, v4                                       // 00000000381C: 7E084504
	v_rcp_f32_e32 v5, v5                                       // 000000003820: 7E0A4505
	v_rcp_f32_e32 v6, v6                                       // 000000003824: 7E0C4506
	v_rcp_f32_e32 v7, v7                                       // 000000003828: 7E0E4507
	v_mul_f32_e32 v48, v48, v4                                 // 00000000382C: 0A600930
	v_mul_f32_e32 v49, v49, v5                                 // 000000003830: 0A620B31
	v_mul_f32_e32 v50, v50, v6                                 // 000000003834: 0A640D32
	v_mul_f32_e32 v51, v51, v7                                 // 000000003838: 0A660F33
	v_mul_f32_e32 v48, v48, v64                                // 00000000383C: 0A608130
	v_mul_f32_e32 v49, v49, v65                                // 000000003840: 0A628331
	v_mul_f32_e32 v50, v50, v66                                // 000000003844: 0A648532
	v_mul_f32_e32 v51, v51, v67                                // 000000003848: 0A668733
	v_pk_mul_f32 v[4:5], v[52:53], v[52:53]                    // 00000000384C: D3B14004 18026934
	v_pk_mul_f32 v[6:7], v[54:55], v[54:55]                    // 000000003854: D3B14006 18026D36
	v_pk_fma_f32 v[4:5], v[4:5], s[78:79], v[8:9]              // 00000000385C: D3B04004 1C209D04
	v_pk_fma_f32 v[6:7], v[6:7], s[78:79], v[8:9]              // 000000003864: D3B04006 1C209D06
	v_pk_mul_f32 v[4:5], v[4:5], v[52:53]                      // 00000000386C: D3B14004 18026904
	v_pk_mul_f32 v[6:7], v[6:7], v[54:55]                      // 000000003874: D3B14006 18026D06
	v_pk_mul_f32 v[4:5], v[4:5], s[60:61]                      // 00000000387C: D3B14004 18007904
	v_pk_mul_f32 v[6:7], v[6:7], s[60:61]                      // 000000003884: D3B14006 18007906
	v_exp_f32_e32 v4, v4                                       // 00000000388C: 7E084104
	v_exp_f32_e32 v5, v5                                       // 000000003890: 7E0A4105
	v_exp_f32_e32 v6, v6                                       // 000000003894: 7E0C4106
	v_exp_f32_e32 v7, v7                                       // 000000003898: 7E0E4107
	v_add_f32_e64 v4, v4, 1.0                                  // 00000000389C: D1010004 0001E504
	v_add_f32_e64 v5, v5, 1.0                                  // 0000000038A4: D1010005 0001E505
	v_add_f32_e64 v6, v6, 1.0                                  // 0000000038AC: D1010006 0001E506
	v_add_f32_e64 v7, v7, 1.0                                  // 0000000038B4: D1010007 0001E507
	v_rcp_f32_e32 v4, v4                                       // 0000000038BC: 7E084504
	v_rcp_f32_e32 v5, v5                                       // 0000000038C0: 7E0A4505
	v_rcp_f32_e32 v6, v6                                       // 0000000038C4: 7E0C4506
	v_rcp_f32_e32 v7, v7                                       // 0000000038C8: 7E0E4507
	v_mul_f32_e32 v52, v52, v4                                 // 0000000038CC: 0A680934
	v_mul_f32_e32 v53, v53, v5                                 // 0000000038D0: 0A6A0B35
	v_mul_f32_e32 v54, v54, v6                                 // 0000000038D4: 0A6C0D36
	v_mul_f32_e32 v55, v55, v7                                 // 0000000038D8: 0A6E0F37
	v_mul_f32_e32 v52, v52, v68                                // 0000000038DC: 0A688934
	v_mul_f32_e32 v53, v53, v69                                // 0000000038E0: 0A6A8B35
	v_mul_f32_e32 v54, v54, v70                                // 0000000038E4: 0A6C8D36
	v_mul_f32_e32 v55, v55, v71                                // 0000000038E8: 0A6E8F37
	s_branch label_043C                                        // 0000000038EC: BF820080

00000000000038f0 <label_03BC>:
	v_mul_f32_e64 v4, -v40, s6                                 // 0000000038F0: D1050004 20000D28
	v_mul_f32_e64 v5, -v41, s6                                 // 0000000038F8: D1050005 20000D29
	v_mul_f32_e64 v6, -v42, s6                                 // 000000003900: D1050006 20000D2A
	v_mul_f32_e64 v7, -v43, s6                                 // 000000003908: D1050007 20000D2B
	v_exp_f32_e32 v4, v4                                       // 000000003910: 7E084104
	v_exp_f32_e32 v5, v5                                       // 000000003914: 7E0A4105
	v_exp_f32_e32 v6, v6                                       // 000000003918: 7E0C4106
	v_exp_f32_e32 v7, v7                                       // 00000000391C: 7E0E4107
	v_add_f32_e64 v4, v4, 1.0                                  // 000000003920: D1010004 0001E504
	v_add_f32_e64 v5, v5, 1.0                                  // 000000003928: D1010005 0001E505
	v_add_f32_e64 v6, v6, 1.0                                  // 000000003930: D1010006 0001E506
	v_add_f32_e64 v7, v7, 1.0                                  // 000000003938: D1010007 0001E507
	v_rcp_f32_e32 v4, v4                                       // 000000003940: 7E084504
	v_rcp_f32_e32 v5, v5                                       // 000000003944: 7E0A4505
	v_rcp_f32_e32 v6, v6                                       // 000000003948: 7E0C4506
	v_rcp_f32_e32 v7, v7                                       // 00000000394C: 7E0E4507
	v_mul_f32_e32 v40, v40, v4                                 // 000000003950: 0A500928
	v_mul_f32_e32 v41, v41, v5                                 // 000000003954: 0A520B29
	v_mul_f32_e32 v42, v42, v6                                 // 000000003958: 0A540D2A
	v_mul_f32_e32 v43, v43, v7                                 // 00000000395C: 0A560F2B
	v_mul_f32_e32 v40, v40, v56                                // 000000003960: 0A507128
	v_mul_f32_e32 v41, v41, v57                                // 000000003964: 0A527329
	v_mul_f32_e32 v42, v42, v58                                // 000000003968: 0A54752A
	v_mul_f32_e32 v43, v43, v59                                // 00000000396C: 0A56772B
	v_mul_f32_e64 v4, -v44, s6                                 // 000000003970: D1050004 20000D2C
	v_mul_f32_e64 v5, -v45, s6                                 // 000000003978: D1050005 20000D2D
	v_mul_f32_e64 v6, -v46, s6                                 // 000000003980: D1050006 20000D2E
	v_mul_f32_e64 v7, -v47, s6                                 // 000000003988: D1050007 20000D2F
	v_exp_f32_e32 v4, v4                                       // 000000003990: 7E084104
	v_exp_f32_e32 v5, v5                                       // 000000003994: 7E0A4105
	v_exp_f32_e32 v6, v6                                       // 000000003998: 7E0C4106
	v_exp_f32_e32 v7, v7                                       // 00000000399C: 7E0E4107
	v_add_f32_e64 v4, v4, 1.0                                  // 0000000039A0: D1010004 0001E504
	v_add_f32_e64 v5, v5, 1.0                                  // 0000000039A8: D1010005 0001E505
	v_add_f32_e64 v6, v6, 1.0                                  // 0000000039B0: D1010006 0001E506
	v_add_f32_e64 v7, v7, 1.0                                  // 0000000039B8: D1010007 0001E507
	v_rcp_f32_e32 v4, v4                                       // 0000000039C0: 7E084504
	v_rcp_f32_e32 v5, v5                                       // 0000000039C4: 7E0A4505
	v_rcp_f32_e32 v6, v6                                       // 0000000039C8: 7E0C4506
	v_rcp_f32_e32 v7, v7                                       // 0000000039CC: 7E0E4507
	v_mul_f32_e32 v44, v44, v4                                 // 0000000039D0: 0A58092C
	v_mul_f32_e32 v45, v45, v5                                 // 0000000039D4: 0A5A0B2D
	v_mul_f32_e32 v46, v46, v6                                 // 0000000039D8: 0A5C0D2E
	v_mul_f32_e32 v47, v47, v7                                 // 0000000039DC: 0A5E0F2F
	v_mul_f32_e32 v44, v44, v60                                // 0000000039E0: 0A58792C
	v_mul_f32_e32 v45, v45, v61                                // 0000000039E4: 0A5A7B2D
	v_mul_f32_e32 v46, v46, v62                                // 0000000039E8: 0A5C7D2E
	v_mul_f32_e32 v47, v47, v63                                // 0000000039EC: 0A5E7F2F
	v_mul_f32_e64 v4, -v48, s6                                 // 0000000039F0: D1050004 20000D30
	v_mul_f32_e64 v5, -v49, s6                                 // 0000000039F8: D1050005 20000D31
	v_mul_f32_e64 v6, -v50, s6                                 // 000000003A00: D1050006 20000D32
	v_mul_f32_e64 v7, -v51, s6                                 // 000000003A08: D1050007 20000D33
	v_exp_f32_e32 v4, v4                                       // 000000003A10: 7E084104
	v_exp_f32_e32 v5, v5                                       // 000000003A14: 7E0A4105
	v_exp_f32_e32 v6, v6                                       // 000000003A18: 7E0C4106
	v_exp_f32_e32 v7, v7                                       // 000000003A1C: 7E0E4107
	v_add_f32_e64 v4, v4, 1.0                                  // 000000003A20: D1010004 0001E504
	v_add_f32_e64 v5, v5, 1.0                                  // 000000003A28: D1010005 0001E505
	v_add_f32_e64 v6, v6, 1.0                                  // 000000003A30: D1010006 0001E506
	v_add_f32_e64 v7, v7, 1.0                                  // 000000003A38: D1010007 0001E507
	v_rcp_f32_e32 v4, v4                                       // 000000003A40: 7E084504
	v_rcp_f32_e32 v5, v5                                       // 000000003A44: 7E0A4505
	v_rcp_f32_e32 v6, v6                                       // 000000003A48: 7E0C4506
	v_rcp_f32_e32 v7, v7                                       // 000000003A4C: 7E0E4507
	v_mul_f32_e32 v48, v48, v4                                 // 000000003A50: 0A600930
	v_mul_f32_e32 v49, v49, v5                                 // 000000003A54: 0A620B31
	v_mul_f32_e32 v50, v50, v6                                 // 000000003A58: 0A640D32
	v_mul_f32_e32 v51, v51, v7                                 // 000000003A5C: 0A660F33
	v_mul_f32_e32 v48, v48, v64                                // 000000003A60: 0A608130
	v_mul_f32_e32 v49, v49, v65                                // 000000003A64: 0A628331
	v_mul_f32_e32 v50, v50, v66                                // 000000003A68: 0A648532
	v_mul_f32_e32 v51, v51, v67                                // 000000003A6C: 0A668733
	v_mul_f32_e64 v4, -v52, s6                                 // 000000003A70: D1050004 20000D34
	v_mul_f32_e64 v5, -v53, s6                                 // 000000003A78: D1050005 20000D35
	v_mul_f32_e64 v6, -v54, s6                                 // 000000003A80: D1050006 20000D36
	v_mul_f32_e64 v7, -v55, s6                                 // 000000003A88: D1050007 20000D37
	v_exp_f32_e32 v4, v4                                       // 000000003A90: 7E084104
	v_exp_f32_e32 v5, v5                                       // 000000003A94: 7E0A4105
	v_exp_f32_e32 v6, v6                                       // 000000003A98: 7E0C4106
	v_exp_f32_e32 v7, v7                                       // 000000003A9C: 7E0E4107
	v_add_f32_e64 v4, v4, 1.0                                  // 000000003AA0: D1010004 0001E504
	v_add_f32_e64 v5, v5, 1.0                                  // 000000003AA8: D1010005 0001E505
	v_add_f32_e64 v6, v6, 1.0                                  // 000000003AB0: D1010006 0001E506
	v_add_f32_e64 v7, v7, 1.0                                  // 000000003AB8: D1010007 0001E507
	v_rcp_f32_e32 v4, v4                                       // 000000003AC0: 7E084504
	v_rcp_f32_e32 v5, v5                                       // 000000003AC4: 7E0A4505
	v_rcp_f32_e32 v6, v6                                       // 000000003AC8: 7E0C4506
	v_rcp_f32_e32 v7, v7                                       // 000000003ACC: 7E0E4507
	v_mul_f32_e32 v52, v52, v4                                 // 000000003AD0: 0A680934
	v_mul_f32_e32 v53, v53, v5                                 // 000000003AD4: 0A6A0B35
	v_mul_f32_e32 v54, v54, v6                                 // 000000003AD8: 0A6C0D36
	v_mul_f32_e32 v55, v55, v7                                 // 000000003ADC: 0A6E0F37
	v_mul_f32_e32 v52, v52, v68                                // 000000003AE0: 0A688934
	v_mul_f32_e32 v53, v53, v69                                // 000000003AE4: 0A6A8B35
	v_mul_f32_e32 v54, v54, v70                                // 000000003AE8: 0A6C8D36
	v_mul_f32_e32 v55, v55, v71                                // 000000003AEC: 0A6E8F37

0000000000003af0 <label_043C>:
	v_cmp_u_f32_e64 s[46:47], v40, v40                         // 000000003AF0: D048002E 00025128
	v_add3_u32 v16, v40, v19, 1                                // 000000003AF8: D1FF0010 02062728
	v_cndmask_b32_e64 v4, v16, v18, s[46:47]                   // 000000003B00: D1000004 00BA2510
	v_cmp_u_f32_e64 s[46:47], v41, v41                         // 000000003B08: D048002E 00025329
	v_add3_u32 v16, v41, v19, 1                                // 000000003B10: D1FF0010 02062729
	v_cndmask_b32_e64 v5, v16, v18, s[46:47]                   // 000000003B18: D1000005 00BA2510
	v_perm_b32 v40, v5, v4, s52                                // 000000003B20: D1ED0028 00D20905
	v_cmp_u_f32_e64 s[46:47], v42, v42                         // 000000003B28: D048002E 0002552A
	v_add3_u32 v16, v42, v19, 1                                // 000000003B30: D1FF0010 0206272A
	v_cndmask_b32_e64 v4, v16, v18, s[46:47]                   // 000000003B38: D1000004 00BA2510
	v_cmp_u_f32_e64 s[46:47], v43, v43                         // 000000003B40: D048002E 0002572B
	v_add3_u32 v16, v43, v19, 1                                // 000000003B48: D1FF0010 0206272B
	v_cndmask_b32_e64 v5, v16, v18, s[46:47]                   // 000000003B50: D1000005 00BA2510
	v_perm_b32 v41, v5, v4, s52                                // 000000003B58: D1ED0029 00D20905
	v_cmp_u_f32_e64 s[46:47], v44, v44                         // 000000003B60: D048002E 0002592C
	v_add3_u32 v16, v44, v19, 1                                // 000000003B68: D1FF0010 0206272C
	v_cndmask_b32_e64 v4, v16, v18, s[46:47]                   // 000000003B70: D1000004 00BA2510
	v_cmp_u_f32_e64 s[46:47], v45, v45                         // 000000003B78: D048002E 00025B2D
	v_add3_u32 v16, v45, v19, 1                                // 000000003B80: D1FF0010 0206272D
	v_cndmask_b32_e64 v5, v16, v18, s[46:47]                   // 000000003B88: D1000005 00BA2510
	v_perm_b32 v42, v5, v4, s52                                // 000000003B90: D1ED002A 00D20905
	v_cmp_u_f32_e64 s[46:47], v46, v46                         // 000000003B98: D048002E 00025D2E
	v_add3_u32 v16, v46, v19, 1                                // 000000003BA0: D1FF0010 0206272E
	v_cndmask_b32_e64 v4, v16, v18, s[46:47]                   // 000000003BA8: D1000004 00BA2510
	v_cmp_u_f32_e64 s[46:47], v47, v47                         // 000000003BB0: D048002E 00025F2F
	v_add3_u32 v16, v47, v19, 1                                // 000000003BB8: D1FF0010 0206272F
	v_cndmask_b32_e64 v5, v16, v18, s[46:47]                   // 000000003BC0: D1000005 00BA2510
	v_perm_b32 v43, v5, v4, s52                                // 000000003BC8: D1ED002B 00D20905
	v_cmp_u_f32_e64 s[46:47], v48, v48                         // 000000003BD0: D048002E 00026130
	v_add3_u32 v16, v48, v19, 1                                // 000000003BD8: D1FF0010 02062730
	v_cndmask_b32_e64 v4, v16, v18, s[46:47]                   // 000000003BE0: D1000004 00BA2510
	v_cmp_u_f32_e64 s[46:47], v49, v49                         // 000000003BE8: D048002E 00026331
	v_add3_u32 v16, v49, v19, 1                                // 000000003BF0: D1FF0010 02062731
	v_cndmask_b32_e64 v5, v16, v18, s[46:47]                   // 000000003BF8: D1000005 00BA2510
	v_perm_b32 v44, v5, v4, s52                                // 000000003C00: D1ED002C 00D20905
	v_cmp_u_f32_e64 s[46:47], v50, v50                         // 000000003C08: D048002E 00026532
	v_add3_u32 v16, v50, v19, 1                                // 000000003C10: D1FF0010 02062732
	v_cndmask_b32_e64 v4, v16, v18, s[46:47]                   // 000000003C18: D1000004 00BA2510
	v_cmp_u_f32_e64 s[46:47], v51, v51                         // 000000003C20: D048002E 00026733
	v_add3_u32 v16, v51, v19, 1                                // 000000003C28: D1FF0010 02062733
	v_cndmask_b32_e64 v5, v16, v18, s[46:47]                   // 000000003C30: D1000005 00BA2510
	v_perm_b32 v45, v5, v4, s52                                // 000000003C38: D1ED002D 00D20905
	v_cmp_u_f32_e64 s[46:47], v52, v52                         // 000000003C40: D048002E 00026934
	v_add3_u32 v16, v52, v19, 1                                // 000000003C48: D1FF0010 02062734
	v_cndmask_b32_e64 v4, v16, v18, s[46:47]                   // 000000003C50: D1000004 00BA2510
	v_cmp_u_f32_e64 s[46:47], v53, v53                         // 000000003C58: D048002E 00026B35
	v_add3_u32 v16, v53, v19, 1                                // 000000003C60: D1FF0010 02062735
	v_cndmask_b32_e64 v5, v16, v18, s[46:47]                   // 000000003C68: D1000005 00BA2510
	v_perm_b32 v46, v5, v4, s52                                // 000000003C70: D1ED002E 00D20905
	v_cmp_u_f32_e64 s[46:47], v54, v54                         // 000000003C78: D048002E 00026D36
	v_add3_u32 v16, v54, v19, 1                                // 000000003C80: D1FF0010 02062736
	v_cndmask_b32_e64 v4, v16, v18, s[46:47]                   // 000000003C88: D1000004 00BA2510
	v_cmp_u_f32_e64 s[46:47], v55, v55                         // 000000003C90: D048002E 00026F37
	v_add3_u32 v16, v55, v19, 1                                // 000000003C98: D1FF0010 02062737
	v_cndmask_b32_e64 v5, v16, v18, s[46:47]                   // 000000003CA0: D1000005 00BA2510
	v_perm_b32 v47, v5, v4, s52                                // 000000003CA8: D1ED002F 00D20905
	ds_write_b64 v20, v[40:41]                                 // 000000003CB0: D89A0000 00002814
	ds_write_b64 v20, v[42:43] offset:2176                     // 000000003CB8: D89A0880 00002A14
	ds_write_b64 v20, v[44:45] offset:4352                     // 000000003CC0: D89A1100 00002C14
	ds_write_b64 v20, v[46:47] offset:6528                     // 000000003CC8: D89A1980 00002E14
	v_lshrrev_b32_e32 v4, 5, v0                                // 000000003CD0: 20080085
	v_xor_b32_e32 v5, 1, v4                                    // 000000003CD4: 2A0A0881
	s_mul_i32 s60, s65, 2                                      // 000000003CD8: 923C8241
	s_cmp_eq_u32 s88, 0                                        // 000000003CDC: BF068058
	s_cselect_b32 s61, 1, 4                                    // 000000003CE0: 853D8481
	s_mul_i32 s60, s61, s60                                    // 000000003CE4: 923C3C3D
	v_readlane_b32 s82, v3, 0                                  // 000000003CE8: D2890052 00010103
	s_lshr_b32 s61, s82, 24                                    // 000000003CF0: 8F3D9852
	s_and_b32 s82, s82, 0xffffff                               // 000000003CF4: 8652FF52 00FFFFFF
	s_mul_i32 s82, s82, s71                                    // 000000003CFC: 92524752
	s_mul_i32 s61, s60, s61                                    // 000000003D00: 923D3D3C
	s_add_u32 s82, s82, s61                                    // 000000003D04: 80523D52
	v_mul_lo_u32 v6, v5, s82                                   // 000000003D08: D2850006 0000A505
	v_readlane_b32 s82, v3, 1                                  // 000000003D10: D2890052 00010303
	s_lshr_b32 s61, s82, 24                                    // 000000003D18: 8F3D9852
	s_and_b32 s82, s82, 0xffffff                               // 000000003D1C: 8652FF52 00FFFFFF
	s_mul_i32 s82, s82, s71                                    // 000000003D24: 92524752
	s_mul_i32 s61, s60, s61                                    // 000000003D28: 923D3D3C
	s_add_u32 s82, s82, s61                                    // 000000003D2C: 80523D52
	v_mul_lo_u32 v7, v4, s82                                   // 000000003D30: D2850007 0000A504
	v_add_u32_e32 v32, v6, v7                                  // 000000003D38: 68400F06
	v_readlane_b32 s82, v3, 2                                  // 000000003D3C: D2890052 00010503
	s_lshr_b32 s61, s82, 24                                    // 000000003D44: 8F3D9852
	s_and_b32 s82, s82, 0xffffff                               // 000000003D48: 8652FF52 00FFFFFF
	s_mul_i32 s82, s82, s71                                    // 000000003D50: 92524752
	s_mul_i32 s61, s60, s61                                    // 000000003D54: 923D3D3C
	s_add_u32 s82, s82, s61                                    // 000000003D58: 80523D52
	v_mul_lo_u32 v6, v5, s82                                   // 000000003D5C: D2850006 0000A505
	v_readlane_b32 s82, v3, 3                                  // 000000003D64: D2890052 00010703
	s_lshr_b32 s61, s82, 24                                    // 000000003D6C: 8F3D9852
	s_and_b32 s82, s82, 0xffffff                               // 000000003D70: 8652FF52 00FFFFFF
	s_mul_i32 s82, s82, s71                                    // 000000003D78: 92524752
	s_mul_i32 s61, s60, s61                                    // 000000003D7C: 923D3D3C
	s_add_u32 s82, s82, s61                                    // 000000003D80: 80523D52
	v_mul_lo_u32 v7, v4, s82                                   // 000000003D84: D2850007 0000A504
	v_add_u32_e32 v33, v6, v7                                  // 000000003D8C: 68420F06
	v_and_b32_e32 v4, 31, v0                                   // 000000003D90: 2608009F
	v_lshrrev_b32_e32 v4, 1, v4                                // 000000003D94: 20080881
	s_cmp_eq_u32 s88, 0                                        // 000000003D98: BF068058
	s_cselect_b32 s61, 2, 4                                    // 000000003D9C: 853D8482
	v_mul_lo_u32 v4, v4, s61                                   // 000000003DA0: D2850004 00007B04
	v_and_b32_e64 v5, v0, 1                                    // 000000003DA8: D1130005 00010300
	v_add_u32_e32 v4, v4, v5                                   // 000000003DB0: 68080B04
	v_lshlrev_b32_e32 v4, 2, v4                                // 000000003DB4: 24080882
	v_add_u32_e32 v32, v32, v4                                 // 000000003DB8: 68400920
	v_add_u32_e32 v33, v33, v4                                 // 000000003DBC: 68420921
	s_waitcnt lgkmcnt(0)                                       // 000000003DC0: BF8CC07F
	s_barrier                                                  // 000000003DC4: BF8A0000
	ds_read_b32 v40, v21                                       // 000000003DC8: D86C0000 28000015
	ds_read_b32 v41, v21 offset:64                             // 000000003DD0: D86C0040 29000015
	ds_read_b32 v42, v21 offset:2176                           // 000000003DD8: D86C0880 2A000015
	ds_read_b32 v43, v21 offset:2240                           // 000000003DE0: D86C08C0 2B000015
	ds_read_b32 v44, v21 offset:4352                           // 000000003DE8: D86C1100 2C000015
	ds_read_b32 v45, v21 offset:4416                           // 000000003DF0: D86C1140 2D000015
	ds_read_b32 v46, v21 offset:6528                           // 000000003DF8: D86C1980 2E000015
	ds_read_b32 v47, v21 offset:6592                           // 000000003E00: D86C19C0 2F000015
	s_waitcnt lgkmcnt(0)                                       // 000000003E08: BF8CC07F
	s_mov_b32 s36, -1                                          // 000000003E0C: BEA400C1
	s_mov_b32 s37, -1                                          // 000000003E10: BEA500C1
	v_mov_b32_e32 v7, 0                                        // 000000003E14: 7E0E0280
	s_or_b32 s9, s9, 0x40000                                   // 000000003E18: 8709FF09 00040000
	s_mov_b64 exec, s[36:37]                                   // 000000003E20: BEFE0124
	v_mov_b32_e32 v6, v32                                      // 000000003E24: 7E0C0320
	s_mov_b64 s[60:61], 0                                      // 000000003E28: BEBC0180
	v_readlane_b32 s82, v3, 0                                  // 000000003E2C: D2890052 00010103
	s_and_b32 s82, s82, 0xffffff                               // 000000003E34: 8652FF52 00FFFFFF
	s_cmp_lt_u32 s82, s66                                      // 000000003E3C: BF0A4252
	s_cselect_b32 s20, s36, s60                                // 000000003E40: 85143C24
	v_readlane_b32 s82, v3, 1                                  // 000000003E44: D2890052 00010303
	s_and_b32 s82, s82, 0xffffff                               // 000000003E4C: 8652FF52 00FFFFFF
	s_cmp_lt_u32 s82, s66                                      // 000000003E54: BF0A4252
	s_cselect_b32 s21, s36, s60                                // 000000003E58: 85153C24
	s_mov_b64 exec, s[20:21]                                   // 000000003E5C: BEFE0114
	buffer_store_dword v40, v6, s[8:11], 0 offen               // 000000003E60: E0701000 80022806
	buffer_store_dword v42, v6, s[8:11], 0 offen offset:128    // 000000003E68: E0701080 80022A06
	buffer_store_dword v44, v6, s[8:11], 0 offen offset:256    // 000000003E70: E0701100 80022C06
	buffer_store_dword v46, v6, s[8:11], 0 offen offset:384    // 000000003E78: E0701180 80022E06
	s_mov_b64 exec, s[36:37]                                   // 000000003E80: BEFE0124
	v_mov_b32_e32 v6, v33                                      // 000000003E84: 7E0C0321
	s_mov_b64 s[60:61], 0                                      // 000000003E88: BEBC0180
	v_readlane_b32 s82, v3, 2                                  // 000000003E8C: D2890052 00010503
	s_and_b32 s82, s82, 0xffffff                               // 000000003E94: 8652FF52 00FFFFFF
	s_cmp_lt_u32 s82, s66                                      // 000000003E9C: BF0A4252
	s_cselect_b32 s20, s36, s60                                // 000000003EA0: 85143C24
	v_readlane_b32 s82, v3, 3                                  // 000000003EA4: D2890052 00010703
	s_and_b32 s82, s82, 0xffffff                               // 000000003EAC: 8652FF52 00FFFFFF
	s_cmp_lt_u32 s82, s66                                      // 000000003EB4: BF0A4252
	s_cselect_b32 s21, s36, s60                                // 000000003EB8: 85153C24
	s_mov_b64 exec, s[20:21]                                   // 000000003EBC: BEFE0114
	buffer_store_dword v41, v6, s[8:11], 0 offen               // 000000003EC0: E0701000 80022906
	buffer_store_dword v43, v6, s[8:11], 0 offen offset:128    // 000000003EC8: E0701080 80022B06
	buffer_store_dword v45, v6, s[8:11], 0 offen offset:256    // 000000003ED0: E0701100 80022D06
	buffer_store_dword v47, v6, s[8:11], 0 offen offset:384    // 000000003ED8: E0701180 80022F06
	s_mov_b64 exec, s[36:37]                                   // 000000003EE0: BEFE0124
	s_branch label_0BC0                                        // 000000003EE4: BF820683

0000000000003ee8 <label_053A>:
	ds_write_b64 v20, v[40:41]                                 // 000000003EE8: D89A0000 00002814
	ds_write_b64 v20, v[44:45] offset:2176                     // 000000003EF0: D89A0880 00002C14
	ds_write_b64 v20, v[48:49] offset:4352                     // 000000003EF8: D89A1100 00003014
	ds_write_b64 v20, v[52:53] offset:6528                     // 000000003F00: D89A1980 00003414
	v_lshrrev_b32_e32 v4, 5, v0                                // 000000003F08: 20080085
	v_xor_b32_e32 v5, 1, v4                                    // 000000003F0C: 2A0A0881
	s_mul_i32 s60, s65, 2                                      // 000000003F10: 923C8241
	s_cmp_eq_u32 s88, 0                                        // 000000003F14: BF068058
	s_cselect_b32 s61, 1, 4                                    // 000000003F18: 853D8481
	s_mul_i32 s60, s61, s60                                    // 000000003F1C: 923C3C3D
	v_readlane_b32 s82, v3, 0                                  // 000000003F20: D2890052 00010103
	s_lshr_b32 s61, s82, 24                                    // 000000003F28: 8F3D9852
	s_and_b32 s82, s82, 0xffffff                               // 000000003F2C: 8652FF52 00FFFFFF
	s_mul_i32 s82, s82, s71                                    // 000000003F34: 92524752
	s_mul_i32 s61, s60, s61                                    // 000000003F38: 923D3D3C
	s_add_u32 s82, s82, s61                                    // 000000003F3C: 80523D52
	v_mul_lo_u32 v6, v5, s82                                   // 000000003F40: D2850006 0000A505
	v_readlane_b32 s82, v3, 1                                  // 000000003F48: D2890052 00010303
	s_lshr_b32 s61, s82, 24                                    // 000000003F50: 8F3D9852
	s_and_b32 s82, s82, 0xffffff                               // 000000003F54: 8652FF52 00FFFFFF
	s_mul_i32 s82, s82, s71                                    // 000000003F5C: 92524752
	s_mul_i32 s61, s60, s61                                    // 000000003F60: 923D3D3C
	s_add_u32 s82, s82, s61                                    // 000000003F64: 80523D52
	v_mul_lo_u32 v7, v4, s82                                   // 000000003F68: D2850007 0000A504
	v_add_u32_e32 v32, v6, v7                                  // 000000003F70: 68400F06
	v_readlane_b32 s82, v3, 2                                  // 000000003F74: D2890052 00010503
	s_lshr_b32 s61, s82, 24                                    // 000000003F7C: 8F3D9852
	s_and_b32 s82, s82, 0xffffff                               // 000000003F80: 8652FF52 00FFFFFF
	s_mul_i32 s82, s82, s71                                    // 000000003F88: 92524752
	s_mul_i32 s61, s60, s61                                    // 000000003F8C: 923D3D3C
	s_add_u32 s82, s82, s61                                    // 000000003F90: 80523D52
	v_mul_lo_u32 v6, v5, s82                                   // 000000003F94: D2850006 0000A505
	v_readlane_b32 s82, v3, 3                                  // 000000003F9C: D2890052 00010703
	s_lshr_b32 s61, s82, 24                                    // 000000003FA4: 8F3D9852
	s_and_b32 s82, s82, 0xffffff                               // 000000003FA8: 8652FF52 00FFFFFF
	s_mul_i32 s82, s82, s71                                    // 000000003FB0: 92524752
	s_mul_i32 s61, s60, s61                                    // 000000003FB4: 923D3D3C
	s_add_u32 s82, s82, s61                                    // 000000003FB8: 80523D52
	v_mul_lo_u32 v7, v4, s82                                   // 000000003FBC: D2850007 0000A504
	v_add_u32_e32 v33, v6, v7                                  // 000000003FC4: 68420F06
	v_and_b32_e32 v4, 31, v0                                   // 000000003FC8: 2608009F
	v_lshrrev_b32_e32 v4, 1, v4                                // 000000003FCC: 20080881
	s_cmp_eq_u32 s88, 0                                        // 000000003FD0: BF068058
	s_cselect_b32 s61, 2, 4                                    // 000000003FD4: 853D8482
	v_mul_lo_u32 v4, v4, s61                                   // 000000003FD8: D2850004 00007B04
	v_and_b32_e64 v5, v0, 1                                    // 000000003FE0: D1130005 00010300
	v_add_u32_e32 v4, v4, v5                                   // 000000003FE8: 68080B04
	v_lshlrev_b32_e32 v4, 2, v4                                // 000000003FEC: 24080882
	v_add_u32_e32 v32, v32, v4                                 // 000000003FF0: 68400920
	v_add_u32_e32 v33, v33, v4                                 // 000000003FF4: 68420921
	s_waitcnt lgkmcnt(0)                                       // 000000003FF8: BF8CC07F
	s_barrier                                                  // 000000003FFC: BF8A0000
	ds_read_b32 v40, v21                                       // 000000004000: D86C0000 28000015
	ds_read_b32 v41, v21 offset:64                             // 000000004008: D86C0040 29000015
	ds_read_b32 v44, v21 offset:2176                           // 000000004010: D86C0880 2C000015
	ds_read_b32 v45, v21 offset:2240                           // 000000004018: D86C08C0 2D000015
	ds_read_b32 v48, v21 offset:4352                           // 000000004020: D86C1100 30000015
	ds_read_b32 v49, v21 offset:4416                           // 000000004028: D86C1140 31000015
	ds_read_b32 v52, v21 offset:6528                           // 000000004030: D86C1980 34000015
	ds_read_b32 v53, v21 offset:6592                           // 000000004038: D86C19C0 35000015
	s_waitcnt lgkmcnt(0)                                       // 000000004040: BF8CC07F
	s_mov_b32 s36, -1                                          // 000000004044: BEA400C1
	s_mov_b32 s37, -1                                          // 000000004048: BEA500C1
	v_mov_b32_e32 v7, 0                                        // 00000000404C: 7E0E0280
	s_mov_b64 exec, s[36:37]                                   // 000000004050: BEFE0124
	v_mov_b32_e32 v6, v32                                      // 000000004054: 7E0C0320
	s_mov_b64 s[60:61], 0                                      // 000000004058: BEBC0180
	v_readlane_b32 s82, v3, 0                                  // 00000000405C: D2890052 00010103
	s_and_b32 s82, s82, 0xffffff                               // 000000004064: 8652FF52 00FFFFFF
	s_cmp_lt_u32 s82, s66                                      // 00000000406C: BF0A4252
	s_cselect_b32 s20, s36, s60                                // 000000004070: 85143C24
	v_readlane_b32 s82, v3, 1                                  // 000000004074: D2890052 00010303
	s_and_b32 s82, s82, 0xffffff                               // 00000000407C: 8652FF52 00FFFFFF
	s_cmp_lt_u32 s82, s66                                      // 000000004084: BF0A4252
	s_cselect_b32 s21, s36, s60                                // 000000004088: 85153C24
	s_mov_b64 exec, s[20:21]                                   // 00000000408C: BEFE0114
	global_atomic_add_f32 v6, v40, s[8:9]                      // 000000004090: DD348000 00082806
	global_atomic_add_f32 v6, v44, s[8:9] offset:256           // 000000004098: DD348100 00082C06
	global_atomic_add_f32 v6, v48, s[8:9] offset:512           // 0000000040A0: DD348200 00083006
	global_atomic_add_f32 v6, v52, s[8:9] offset:768           // 0000000040A8: DD348300 00083406
	s_mov_b64 exec, s[36:37]                                   // 0000000040B0: BEFE0124
	v_mov_b32_e32 v6, v33                                      // 0000000040B4: 7E0C0321
	s_mov_b64 s[60:61], 0                                      // 0000000040B8: BEBC0180
	v_readlane_b32 s82, v3, 2                                  // 0000000040BC: D2890052 00010503
	s_and_b32 s82, s82, 0xffffff                               // 0000000040C4: 8652FF52 00FFFFFF
	s_cmp_lt_u32 s82, s66                                      // 0000000040CC: BF0A4252
	s_cselect_b32 s20, s36, s60                                // 0000000040D0: 85143C24
	v_readlane_b32 s82, v3, 3                                  // 0000000040D4: D2890052 00010703
	s_and_b32 s82, s82, 0xffffff                               // 0000000040DC: 8652FF52 00FFFFFF
	s_cmp_lt_u32 s82, s66                                      // 0000000040E4: BF0A4252
	s_cselect_b32 s21, s36, s60                                // 0000000040E8: 85153C24
	s_mov_b64 exec, s[20:21]                                   // 0000000040EC: BEFE0114
	global_atomic_add_f32 v6, v41, s[8:9]                      // 0000000040F0: DD348000 00082906
	global_atomic_add_f32 v6, v45, s[8:9] offset:256           // 0000000040F8: DD348100 00082D06
	global_atomic_add_f32 v6, v49, s[8:9] offset:512           // 000000004100: DD348200 00083106
	global_atomic_add_f32 v6, v53, s[8:9] offset:768           // 000000004108: DD348300 00083506
	s_mov_b64 exec, s[36:37]                                   // 000000004110: BEFE0124
	ds_write_b64 v20, v[42:43]                                 // 000000004114: D89A0000 00002A14
	ds_write_b64 v20, v[46:47] offset:2176                     // 00000000411C: D89A0880 00002E14
	ds_write_b64 v20, v[50:51] offset:4352                     // 000000004124: D89A1100 00003214
	ds_write_b64 v20, v[54:55] offset:6528                     // 00000000412C: D89A1980 00003614
	s_waitcnt lgkmcnt(0)                                       // 000000004134: BF8CC07F
	s_barrier                                                  // 000000004138: BF8A0000
	ds_read_b32 v42, v21                                       // 00000000413C: D86C0000 2A000015
	ds_read_b32 v43, v21 offset:64                             // 000000004144: D86C0040 2B000015
	ds_read_b32 v46, v21 offset:2176                           // 00000000414C: D86C0880 2E000015
	ds_read_b32 v47, v21 offset:2240                           // 000000004154: D86C08C0 2F000015
	ds_read_b32 v50, v21 offset:4352                           // 00000000415C: D86C1100 32000015
	ds_read_b32 v51, v21 offset:4416                           // 000000004164: D86C1140 33000015
	ds_read_b32 v54, v21 offset:6528                           // 00000000416C: D86C1980 36000015
	ds_read_b32 v55, v21 offset:6592                           // 000000004174: D86C19C0 37000015
	s_waitcnt lgkmcnt(0)                                       // 00000000417C: BF8CC07F
	v_mov_b32_e32 v7, 0                                        // 000000004180: 7E0E0280
	s_mov_b64 exec, s[36:37]                                   // 000000004184: BEFE0124
	v_mov_b32_e32 v6, v32                                      // 000000004188: 7E0C0320
	s_mov_b64 s[60:61], 0                                      // 00000000418C: BEBC0180
	v_readlane_b32 s82, v3, 0                                  // 000000004190: D2890052 00010103
	s_and_b32 s82, s82, 0xffffff                               // 000000004198: 8652FF52 00FFFFFF
	s_cmp_lt_u32 s82, s66                                      // 0000000041A0: BF0A4252
	s_cselect_b32 s20, s36, s60                                // 0000000041A4: 85143C24
	v_readlane_b32 s82, v3, 1                                  // 0000000041A8: D2890052 00010303
	s_and_b32 s82, s82, 0xffffff                               // 0000000041B0: 8652FF52 00FFFFFF
	s_cmp_lt_u32 s82, s66                                      // 0000000041B8: BF0A4252
	s_cselect_b32 s21, s36, s60                                // 0000000041BC: 85153C24
	s_mov_b64 exec, s[20:21]                                   // 0000000041C0: BEFE0114
	global_atomic_add_f32 v6, v42, s[8:9] offset:8             // 0000000041C4: DD348008 00082A06
	global_atomic_add_f32 v6, v46, s[8:9] offset:264           // 0000000041CC: DD348108 00082E06
	global_atomic_add_f32 v6, v50, s[8:9] offset:520           // 0000000041D4: DD348208 00083206
	global_atomic_add_f32 v6, v54, s[8:9] offset:776           // 0000000041DC: DD348308 00083606
	s_mov_b64 exec, s[36:37]                                   // 0000000041E4: BEFE0124
	v_mov_b32_e32 v6, v33                                      // 0000000041E8: 7E0C0321
	s_mov_b64 s[60:61], 0                                      // 0000000041EC: BEBC0180
	v_readlane_b32 s82, v3, 2                                  // 0000000041F0: D2890052 00010503
	s_and_b32 s82, s82, 0xffffff                               // 0000000041F8: 8652FF52 00FFFFFF
	s_cmp_lt_u32 s82, s66                                      // 000000004200: BF0A4252
	s_cselect_b32 s20, s36, s60                                // 000000004204: 85143C24
	v_readlane_b32 s82, v3, 3                                  // 000000004208: D2890052 00010703
	s_and_b32 s82, s82, 0xffffff                               // 000000004210: 8652FF52 00FFFFFF
	s_cmp_lt_u32 s82, s66                                      // 000000004218: BF0A4252
	s_cselect_b32 s21, s36, s60                                // 00000000421C: 85153C24
	s_mov_b64 exec, s[20:21]                                   // 000000004220: BEFE0114
	global_atomic_add_f32 v6, v43, s[8:9] offset:8             // 000000004224: DD348008 00082B06
	global_atomic_add_f32 v6, v47, s[8:9] offset:264           // 00000000422C: DD348108 00082F06
	global_atomic_add_f32 v6, v51, s[8:9] offset:520           // 000000004234: DD348208 00083306
	global_atomic_add_f32 v6, v55, s[8:9] offset:776           // 00000000423C: DD348308 00083706
	s_mov_b64 exec, s[36:37]                                   // 000000004244: BEFE0124
	ds_write_b64 v20, v[56:57]                                 // 000000004248: D89A0000 00003814
	ds_write_b64 v20, v[60:61] offset:2176                     // 000000004250: D89A0880 00003C14
	ds_write_b64 v20, v[64:65] offset:4352                     // 000000004258: D89A1100 00004014
	ds_write_b64 v20, v[68:69] offset:6528                     // 000000004260: D89A1980 00004414
	s_waitcnt lgkmcnt(0)                                       // 000000004268: BF8CC07F
	s_barrier                                                  // 00000000426C: BF8A0000
	ds_read_b32 v56, v21                                       // 000000004270: D86C0000 38000015
	ds_read_b32 v57, v21 offset:64                             // 000000004278: D86C0040 39000015
	ds_read_b32 v60, v21 offset:2176                           // 000000004280: D86C0880 3C000015
	ds_read_b32 v61, v21 offset:2240                           // 000000004288: D86C08C0 3D000015
	ds_read_b32 v64, v21 offset:4352                           // 000000004290: D86C1100 40000015
	ds_read_b32 v65, v21 offset:4416                           // 000000004298: D86C1140 41000015
	ds_read_b32 v68, v21 offset:6528                           // 0000000042A0: D86C1980 44000015
	ds_read_b32 v69, v21 offset:6592                           // 0000000042A8: D86C19C0 45000015
	s_mul_i32 s60, s65, 4                                      // 0000000042B0: 923C8441
	s_add_u32 s8, s60, s8                                      // 0000000042B4: 8008083C
	s_addc_u32 s9, 0, s9                                       // 0000000042B8: 82090980
	s_waitcnt lgkmcnt(0)                                       // 0000000042BC: BF8CC07F
	v_mov_b32_e32 v7, 0                                        // 0000000042C0: 7E0E0280
	s_mov_b64 exec, s[36:37]                                   // 0000000042C4: BEFE0124
	v_mov_b32_e32 v6, v32                                      // 0000000042C8: 7E0C0320
	s_mov_b64 s[60:61], 0                                      // 0000000042CC: BEBC0180
	v_readlane_b32 s82, v3, 0                                  // 0000000042D0: D2890052 00010103
	s_and_b32 s82, s82, 0xffffff                               // 0000000042D8: 8652FF52 00FFFFFF
	s_cmp_lt_u32 s82, s66                                      // 0000000042E0: BF0A4252
	s_cselect_b32 s20, s36, s60                                // 0000000042E4: 85143C24
	v_readlane_b32 s82, v3, 1                                  // 0000000042E8: D2890052 00010303
	s_and_b32 s82, s82, 0xffffff                               // 0000000042F0: 8652FF52 00FFFFFF
	s_cmp_lt_u32 s82, s66                                      // 0000000042F8: BF0A4252
	s_cselect_b32 s21, s36, s60                                // 0000000042FC: 85153C24
	s_mov_b64 exec, s[20:21]                                   // 000000004300: BEFE0114
	global_atomic_add_f32 v6, v56, s[8:9]                      // 000000004304: DD348000 00083806
	global_atomic_add_f32 v6, v60, s[8:9] offset:256           // 00000000430C: DD348100 00083C06
	global_atomic_add_f32 v6, v64, s[8:9] offset:512           // 000000004314: DD348200 00084006
	global_atomic_add_f32 v6, v68, s[8:9] offset:768           // 00000000431C: DD348300 00084406
	s_mov_b64 exec, s[36:37]                                   // 000000004324: BEFE0124
	v_mov_b32_e32 v6, v33                                      // 000000004328: 7E0C0321
	s_mov_b64 s[60:61], 0                                      // 00000000432C: BEBC0180
	v_readlane_b32 s82, v3, 2                                  // 000000004330: D2890052 00010503
	s_and_b32 s82, s82, 0xffffff                               // 000000004338: 8652FF52 00FFFFFF
	s_cmp_lt_u32 s82, s66                                      // 000000004340: BF0A4252
	s_cselect_b32 s20, s36, s60                                // 000000004344: 85143C24
	v_readlane_b32 s82, v3, 3                                  // 000000004348: D2890052 00010703
	s_and_b32 s82, s82, 0xffffff                               // 000000004350: 8652FF52 00FFFFFF
	s_cmp_lt_u32 s82, s66                                      // 000000004358: BF0A4252
	s_cselect_b32 s21, s36, s60                                // 00000000435C: 85153C24
	s_mov_b64 exec, s[20:21]                                   // 000000004360: BEFE0114
	global_atomic_add_f32 v6, v57, s[8:9]                      // 000000004364: DD348000 00083906
	global_atomic_add_f32 v6, v61, s[8:9] offset:256           // 00000000436C: DD348100 00083D06
	global_atomic_add_f32 v6, v65, s[8:9] offset:512           // 000000004374: DD348200 00084106
	global_atomic_add_f32 v6, v69, s[8:9] offset:768           // 00000000437C: DD348300 00084506
	s_mov_b64 exec, s[36:37]                                   // 000000004384: BEFE0124
	ds_write_b64 v20, v[58:59]                                 // 000000004388: D89A0000 00003A14
	ds_write_b64 v20, v[62:63] offset:2176                     // 000000004390: D89A0880 00003E14
	ds_write_b64 v20, v[66:67] offset:4352                     // 000000004398: D89A1100 00004214
	ds_write_b64 v20, v[70:71] offset:6528                     // 0000000043A0: D89A1980 00004614
	s_waitcnt lgkmcnt(0)                                       // 0000000043A8: BF8CC07F
	s_barrier                                                  // 0000000043AC: BF8A0000
	ds_read_b32 v58, v21                                       // 0000000043B0: D86C0000 3A000015
	ds_read_b32 v59, v21 offset:64                             // 0000000043B8: D86C0040 3B000015
	ds_read_b32 v62, v21 offset:2176                           // 0000000043C0: D86C0880 3E000015
	ds_read_b32 v63, v21 offset:2240                           // 0000000043C8: D86C08C0 3F000015
	ds_read_b32 v66, v21 offset:4352                           // 0000000043D0: D86C1100 42000015
	ds_read_b32 v67, v21 offset:4416                           // 0000000043D8: D86C1140 43000015
	ds_read_b32 v70, v21 offset:6528                           // 0000000043E0: D86C1980 46000015
	ds_read_b32 v71, v21 offset:6592                           // 0000000043E8: D86C19C0 47000015
	s_waitcnt lgkmcnt(0)                                       // 0000000043F0: BF8CC07F
	v_mov_b32_e32 v7, 0                                        // 0000000043F4: 7E0E0280
	s_mov_b64 exec, s[36:37]                                   // 0000000043F8: BEFE0124
	v_mov_b32_e32 v6, v32                                      // 0000000043FC: 7E0C0320
	s_mov_b64 s[60:61], 0                                      // 000000004400: BEBC0180
	v_readlane_b32 s82, v3, 0                                  // 000000004404: D2890052 00010103
	s_and_b32 s82, s82, 0xffffff                               // 00000000440C: 8652FF52 00FFFFFF
	s_cmp_lt_u32 s82, s66                                      // 000000004414: BF0A4252
	s_cselect_b32 s20, s36, s60                                // 000000004418: 85143C24
	v_readlane_b32 s82, v3, 1                                  // 00000000441C: D2890052 00010303
	s_and_b32 s82, s82, 0xffffff                               // 000000004424: 8652FF52 00FFFFFF
	s_cmp_lt_u32 s82, s66                                      // 00000000442C: BF0A4252
	s_cselect_b32 s21, s36, s60                                // 000000004430: 85153C24
	s_mov_b64 exec, s[20:21]                                   // 000000004434: BEFE0114
	global_atomic_add_f32 v6, v58, s[8:9] offset:8             // 000000004438: DD348008 00083A06
	global_atomic_add_f32 v6, v62, s[8:9] offset:264           // 000000004440: DD348108 00083E06
	global_atomic_add_f32 v6, v66, s[8:9] offset:520           // 000000004448: DD348208 00084206
	global_atomic_add_f32 v6, v70, s[8:9] offset:776           // 000000004450: DD348308 00084606
	s_mov_b64 exec, s[36:37]                                   // 000000004458: BEFE0124
	v_mov_b32_e32 v6, v33                                      // 00000000445C: 7E0C0321
	s_mov_b64 s[60:61], 0                                      // 000000004460: BEBC0180
	v_readlane_b32 s82, v3, 2                                  // 000000004464: D2890052 00010503
	s_and_b32 s82, s82, 0xffffff                               // 00000000446C: 8652FF52 00FFFFFF
	s_cmp_lt_u32 s82, s66                                      // 000000004474: BF0A4252
	s_cselect_b32 s20, s36, s60                                // 000000004478: 85143C24
	v_readlane_b32 s82, v3, 3                                  // 00000000447C: D2890052 00010703
	s_and_b32 s82, s82, 0xffffff                               // 000000004484: 8652FF52 00FFFFFF
	s_cmp_lt_u32 s82, s66                                      // 00000000448C: BF0A4252
	s_cselect_b32 s21, s36, s60                                // 000000004490: 85153C24
	s_mov_b64 exec, s[20:21]                                   // 000000004494: BEFE0114
	global_atomic_add_f32 v6, v59, s[8:9] offset:8             // 000000004498: DD348008 00083B06
	global_atomic_add_f32 v6, v63, s[8:9] offset:264           // 0000000044A0: DD348108 00083F06
	global_atomic_add_f32 v6, v67, s[8:9] offset:520           // 0000000044A8: DD348208 00084306
	global_atomic_add_f32 v6, v71, s[8:9] offset:776           // 0000000044B0: DD348308 00084706
	s_mov_b64 exec, s[36:37]                                   // 0000000044B8: BEFE0124
	s_branch label_0BC0                                        // 0000000044BC: BF82050D

00000000000044c0 <label_06B3>:
	s_waitcnt vmcnt(6) lgkmcnt(0)                              // 0000000044C0: BF8C0076
	s_barrier                                                  // 0000000044C4: BF8A0000
	v_mfma_f32_16x16x32_fp8_fp8 v[40:43], a[16:17], a[0:1], v[40:43]// 0000000044C8: D3F30028 1CA20110
	buffer_load_dwordx4 a[48:51], v34, s[84:87], 0 offen       // 0000000044D0: E05C1000 80953022
	v_mfma_f32_16x16x32_fp8_fp8 v[40:43], a[18:19], a[2:3], v[40:43]// 0000000044D8: D3F30028 1CA20512
	v_mfma_f32_16x16x32_fp8_fp8 v[40:43], a[20:21], a[4:5], v[40:43]// 0000000044E0: D3F30028 1CA20914
	v_mfma_f32_16x16x32_fp8_fp8 v[40:43], a[22:23], a[6:7], v[40:43]// 0000000044E8: D3F30028 1CA20D16
	s_waitcnt vmcnt(5)                                         // 0000000044F0: BF8C0F75
	v_mfma_f32_16x16x32_fp8_fp8 v[44:47], a[24:25], a[0:1], v[44:47]// 0000000044F4: D3F3002C 1CB20118
	buffer_load_dwordx4 a[52:55], v34, s[84:87], 0 offen offset:1024// 0000000044FC: E05C1400 80953422
	v_mfma_f32_16x16x32_fp8_fp8 v[44:47], a[26:27], a[2:3], v[44:47]// 000000004504: D3F3002C 1CB2051A
	v_mfma_f32_16x16x32_fp8_fp8 v[44:47], a[28:29], a[4:5], v[44:47]// 00000000450C: D3F3002C 1CB2091C
	v_mfma_f32_16x16x32_fp8_fp8 v[44:47], a[30:31], a[6:7], v[44:47]// 000000004514: D3F3002C 1CB20D1E
	s_waitcnt vmcnt(4)                                         // 00000000451C: BF8C0F74
	v_mfma_f32_16x16x32_fp8_fp8 v[48:51], a[32:33], a[0:1], v[48:51]// 000000004520: D3F30030 1CC20120
	buffer_load_dwordx4 a[56:59], v35, s[84:87], 0 offen       // 000000004528: E05C1000 80953823
	v_mfma_f32_16x16x32_fp8_fp8 v[48:51], a[34:35], a[2:3], v[48:51]// 000000004530: D3F30030 1CC20522
	v_mfma_f32_16x16x32_fp8_fp8 v[48:51], a[36:37], a[4:5], v[48:51]// 000000004538: D3F30030 1CC20924
	v_mfma_f32_16x16x32_fp8_fp8 v[48:51], a[38:39], a[6:7], v[48:51]// 000000004540: D3F30030 1CC20D26
	s_waitcnt vmcnt(3)                                         // 000000004548: BF8C0F73
	v_mfma_f32_16x16x32_fp8_fp8 v[52:55], a[40:41], a[0:1], v[52:55]// 00000000454C: D3F30034 1CD20128
	buffer_load_dwordx4 a[60:63], v35, s[84:87], 0 offen offset:1024// 000000004554: E05C1400 80953C23
	v_mfma_f32_16x16x32_fp8_fp8 v[52:55], a[42:43], a[2:3], v[52:55]// 00000000455C: D3F30034 1CD2052A
	s_add_u32 s60, 0x80, s80                                   // 000000004564: 803C50FF 00000080
	s_cmp_lt_u32 s60, s81                                      // 00000000456C: BF0A513C
	s_cselect_b32 s83, s83, 0                                  // 000000004570: 85538053
	v_mfma_f32_16x16x32_fp8_fp8 v[52:55], a[44:45], a[4:5], v[52:55]// 000000004574: D3F30034 1CD2092C
	v_mfma_f32_16x16x32_fp8_fp8 v[52:55], a[46:47], a[6:7], v[52:55]// 00000000457C: D3F30034 1CD20D2E
	buffer_load_dwordx4 a[64:67], v36, s[84:87], 0 offen       // 000000004584: E05C1000 80954024
	buffer_load_dwordx4 a[68:71], v36, s[84:87], 0 offen offset:1024// 00000000458C: E05C1400 80954424
	buffer_load_dwordx4 a[72:75], v37, s[84:87], 0 offen       // 000000004594: E05C1000 80954825
	buffer_load_dwordx4 a[76:79], v37, s[84:87], 0 offen offset:1024// 00000000459C: E05C1400 80954C25
	buffer_load_dword v32, s[20:23], 0 offen lds               // 0000000045A4: E0511000 80050020
	s_add_u32 m0, 0x100, s48                                   // 0000000045AC: 807C30FF 00000100
	buffer_load_dword v33, s[20:23], 0 offen lds               // 0000000045B4: E0511000 80050021
	s_add_u32 m0, 0, s49                                       // 0000000045BC: 807C3180
	s_waitcnt vmcnt(2)                                         // 0000000045C0: BF8C0F72
	v_mfma_f32_16x16x32_fp8_fp8 v[56:59], a[48:49], a[0:1], v[56:59]// 0000000045C4: D3F30038 1CE20130
	buffer_load_dwordx4 a[16:19], v34, s[24:27], 0 offen       // 0000000045CC: E05C1000 80861022
	v_mfma_f32_16x16x32_fp8_fp8 v[56:59], a[50:51], a[2:3], v[56:59]// 0000000045D4: D3F30038 1CE20532
	v_mfma_f32_16x16x32_fp8_fp8 v[56:59], a[52:53], a[4:5], v[56:59]// 0000000045DC: D3F30038 1CE20934
	ds_read_b128 a[8:11], v2 offset:2176                       // 0000000045E4: DBFE0880 08000002
	ds_read_b128 a[12:15], v2 offset:2240                      // 0000000045EC: DBFE08C0 0C000002
	v_mfma_f32_16x16x32_fp8_fp8 v[56:59], a[54:55], a[6:7], v[56:59]// 0000000045F4: D3F30038 1CE20D36
	v_mfma_f32_16x16x32_fp8_fp8 v[60:63], a[56:57], a[0:1], v[60:63]// 0000000045FC: D3F3003C 1CF20138
	buffer_load_dwordx4 a[20:23], v34, s[24:27], 0 offen offset:1024// 000000004604: E05C1400 80861422
	v_mfma_f32_16x16x32_fp8_fp8 v[60:63], a[58:59], a[2:3], v[60:63]// 00000000460C: D3F3003C 1CF2053A
	v_mfma_f32_16x16x32_fp8_fp8 v[60:63], a[60:61], a[4:5], v[60:63]// 000000004614: D3F3003C 1CF2093C
	v_mfma_f32_16x16x32_fp8_fp8 v[60:63], a[62:63], a[6:7], v[60:63]// 00000000461C: D3F3003C 1CF20D3E
	v_mfma_f32_16x16x32_fp8_fp8 v[64:67], a[64:65], a[0:1], v[64:67]// 000000004624: D3F30040 1D020140
	buffer_load_dwordx4 a[24:27], v35, s[24:27], 0 offen       // 00000000462C: E05C1000 80861823
	v_mfma_f32_16x16x32_fp8_fp8 v[64:67], a[66:67], a[2:3], v[64:67]// 000000004634: D3F30040 1D020542
	v_mfma_f32_16x16x32_fp8_fp8 v[64:67], a[68:69], a[4:5], v[64:67]// 00000000463C: D3F30040 1D020944
	s_add_u32 s60, 0x180, s80                                  // 000000004644: 803C50FF 00000180
	s_cmp_lt_u32 s60, s81                                      // 00000000464C: BF0A513C
	s_cselect_b32 s57, s57, 0                                  // 000000004650: 85398039
	v_mfma_f32_16x16x32_fp8_fp8 v[64:67], a[70:71], a[6:7], v[64:67]// 000000004654: D3F30040 1D020D46
	s_add_u32 s60, 0x100, s80                                  // 00000000465C: 803C50FF 00000100
	s_cmp_lt_u32 s60, s81                                      // 000000004664: BF0A513C
	s_cselect_b32 s58, s58, 0                                  // 000000004668: 853A803A
	v_mfma_f32_16x16x32_fp8_fp8 v[68:71], a[72:73], a[0:1], v[68:71]// 00000000466C: D3F30044 1D120148
	buffer_load_dwordx4 a[28:31], v35, s[24:27], 0 offen offset:1024// 000000004674: E05C1400 80861C23
	v_mfma_f32_16x16x32_fp8_fp8 v[68:71], a[74:75], a[2:3], v[68:71]// 00000000467C: D3F30044 1D12054A
	s_add_u32 s20, s57, s20                                    // 000000004684: 80141439
	s_addc_u32 s21, 0, s21                                     // 000000004688: 82151580
	v_mfma_f32_16x16x32_fp8_fp8 v[68:71], a[76:77], a[4:5], v[68:71]// 00000000468C: D3F30044 1D12094C
	s_add_u32 s84, s83, s84                                    // 000000004694: 80545453
	s_addc_u32 s85, 0, s85                                     // 000000004698: 82555580
	v_mfma_f32_16x16x32_fp8_fp8 v[68:71], a[78:79], a[6:7], v[68:71]// 00000000469C: D3F30044 1D120D4E
	buffer_load_dwordx4 a[32:35], v36, s[24:27], 0 offen       // 0000000046A4: E05C1000 80862024
	buffer_load_dwordx4 a[36:39], v36, s[24:27], 0 offen offset:1024// 0000000046AC: E05C1400 80862424
	buffer_load_dwordx4 a[40:43], v37, s[24:27], 0 offen       // 0000000046B4: E05C1000 80862825
	buffer_load_dwordx4 a[44:47], v37, s[24:27], 0 offen offset:1024// 0000000046BC: E05C1400 80862C25
	s_add_u32 s24, s58, s24                                    // 0000000046C4: 8018183A
	s_addc_u32 s25, 0, s25                                     // 0000000046C8: 82191980
	s_addk_i32 s80, 0x80                                       // 0000000046CC: B7500080
	s_cmp_lt_i32 s80, s81                                      // 0000000046D0: BF045150
	s_cbranch_scc0 label_07C0                                  // 0000000046D4: BF840087
	s_waitcnt vmcnt(6) lgkmcnt(0)                              // 0000000046D8: BF8C0076
	s_barrier                                                  // 0000000046DC: BF8A0000
	v_mfma_f32_16x16x32_fp8_fp8 v[40:43], a[16:17], a[8:9], v[40:43]// 0000000046E0: D3F30028 1CA21110
	buffer_load_dwordx4 a[48:51], v34, s[84:87], 0 offen       // 0000000046E8: E05C1000 80953022
	v_mfma_f32_16x16x32_fp8_fp8 v[40:43], a[18:19], a[10:11], v[40:43]// 0000000046F0: D3F30028 1CA21512
	v_mfma_f32_16x16x32_fp8_fp8 v[40:43], a[20:21], a[12:13], v[40:43]// 0000000046F8: D3F30028 1CA21914
	v_mfma_f32_16x16x32_fp8_fp8 v[40:43], a[22:23], a[14:15], v[40:43]// 000000004700: D3F30028 1CA21D16
	s_waitcnt vmcnt(5)                                         // 000000004708: BF8C0F75
	v_mfma_f32_16x16x32_fp8_fp8 v[44:47], a[24:25], a[8:9], v[44:47]// 00000000470C: D3F3002C 1CB21118
	buffer_load_dwordx4 a[52:55], v34, s[84:87], 0 offen offset:1024// 000000004714: E05C1400 80953422
	v_mfma_f32_16x16x32_fp8_fp8 v[44:47], a[26:27], a[10:11], v[44:47]// 00000000471C: D3F3002C 1CB2151A
	v_mfma_f32_16x16x32_fp8_fp8 v[44:47], a[28:29], a[12:13], v[44:47]// 000000004724: D3F3002C 1CB2191C
	v_mfma_f32_16x16x32_fp8_fp8 v[44:47], a[30:31], a[14:15], v[44:47]// 00000000472C: D3F3002C 1CB21D1E
	s_waitcnt vmcnt(4)                                         // 000000004734: BF8C0F74
	v_mfma_f32_16x16x32_fp8_fp8 v[48:51], a[32:33], a[8:9], v[48:51]// 000000004738: D3F30030 1CC21120
	buffer_load_dwordx4 a[56:59], v35, s[84:87], 0 offen       // 000000004740: E05C1000 80953823
	v_mfma_f32_16x16x32_fp8_fp8 v[48:51], a[34:35], a[10:11], v[48:51]// 000000004748: D3F30030 1CC21522
	v_mfma_f32_16x16x32_fp8_fp8 v[48:51], a[36:37], a[12:13], v[48:51]// 000000004750: D3F30030 1CC21924
	v_mfma_f32_16x16x32_fp8_fp8 v[48:51], a[38:39], a[14:15], v[48:51]// 000000004758: D3F30030 1CC21D26
	s_waitcnt vmcnt(3)                                         // 000000004760: BF8C0F73
	v_mfma_f32_16x16x32_fp8_fp8 v[52:55], a[40:41], a[8:9], v[52:55]// 000000004764: D3F30034 1CD21128
	buffer_load_dwordx4 a[60:63], v35, s[84:87], 0 offen offset:1024// 00000000476C: E05C1400 80953C23
	v_mfma_f32_16x16x32_fp8_fp8 v[52:55], a[42:43], a[10:11], v[52:55]// 000000004774: D3F30034 1CD2152A
	s_add_u32 s60, 0x80, s80                                   // 00000000477C: 803C50FF 00000080
	s_cmp_lt_u32 s60, s81                                      // 000000004784: BF0A513C
	s_cselect_b32 s83, s83, 0                                  // 000000004788: 85538053
	v_mfma_f32_16x16x32_fp8_fp8 v[52:55], a[44:45], a[12:13], v[52:55]// 00000000478C: D3F30034 1CD2192C
	v_mfma_f32_16x16x32_fp8_fp8 v[52:55], a[46:47], a[14:15], v[52:55]// 000000004794: D3F30034 1CD21D2E
	buffer_load_dwordx4 a[64:67], v36, s[84:87], 0 offen       // 00000000479C: E05C1000 80954024
	buffer_load_dwordx4 a[68:71], v36, s[84:87], 0 offen offset:1024// 0000000047A4: E05C1400 80954424
	buffer_load_dwordx4 a[72:75], v37, s[84:87], 0 offen       // 0000000047AC: E05C1000 80954825
	buffer_load_dwordx4 a[76:79], v37, s[84:87], 0 offen offset:1024// 0000000047B4: E05C1400 80954C25
	buffer_load_dword v32, s[20:23], 0 offen lds               // 0000000047BC: E0511000 80050020
	s_add_u32 m0, 0x100, s49                                   // 0000000047C4: 807C31FF 00000100
	buffer_load_dword v33, s[20:23], 0 offen lds               // 0000000047CC: E0511000 80050021
	s_add_u32 m0, 0, s48                                       // 0000000047D4: 807C3080
	s_waitcnt vmcnt(2)                                         // 0000000047D8: BF8C0F72
	v_mfma_f32_16x16x32_fp8_fp8 v[56:59], a[48:49], a[8:9], v[56:59]// 0000000047DC: D3F30038 1CE21130
	buffer_load_dwordx4 a[16:19], v34, s[24:27], 0 offen       // 0000000047E4: E05C1000 80861022
	v_mfma_f32_16x16x32_fp8_fp8 v[56:59], a[50:51], a[10:11], v[56:59]// 0000000047EC: D3F30038 1CE21532
	v_mfma_f32_16x16x32_fp8_fp8 v[56:59], a[52:53], a[12:13], v[56:59]// 0000000047F4: D3F30038 1CE21934
	ds_read_b128 a[0:3], v2                                    // 0000000047FC: DBFE0000 00000002
	ds_read_b128 a[4:7], v2 offset:64                          // 000000004804: DBFE0040 04000002
	v_mfma_f32_16x16x32_fp8_fp8 v[56:59], a[54:55], a[14:15], v[56:59]// 00000000480C: D3F30038 1CE21D36
	v_mfma_f32_16x16x32_fp8_fp8 v[60:63], a[56:57], a[8:9], v[60:63]// 000000004814: D3F3003C 1CF21138
	buffer_load_dwordx4 a[20:23], v34, s[24:27], 0 offen offset:1024// 00000000481C: E05C1400 80861422
	v_mfma_f32_16x16x32_fp8_fp8 v[60:63], a[58:59], a[10:11], v[60:63]// 000000004824: D3F3003C 1CF2153A
	v_mfma_f32_16x16x32_fp8_fp8 v[60:63], a[60:61], a[12:13], v[60:63]// 00000000482C: D3F3003C 1CF2193C
	v_mfma_f32_16x16x32_fp8_fp8 v[60:63], a[62:63], a[14:15], v[60:63]// 000000004834: D3F3003C 1CF21D3E
	v_mfma_f32_16x16x32_fp8_fp8 v[64:67], a[64:65], a[8:9], v[64:67]// 00000000483C: D3F30040 1D021140
	buffer_load_dwordx4 a[24:27], v35, s[24:27], 0 offen       // 000000004844: E05C1000 80861823
	v_mfma_f32_16x16x32_fp8_fp8 v[64:67], a[66:67], a[10:11], v[64:67]// 00000000484C: D3F30040 1D021542
	v_mfma_f32_16x16x32_fp8_fp8 v[64:67], a[68:69], a[12:13], v[64:67]// 000000004854: D3F30040 1D021944
	s_add_u32 s60, 0x180, s80                                  // 00000000485C: 803C50FF 00000180
	s_cmp_lt_u32 s60, s81                                      // 000000004864: BF0A513C
	s_cselect_b32 s57, s57, 0                                  // 000000004868: 85398039
	v_mfma_f32_16x16x32_fp8_fp8 v[64:67], a[70:71], a[14:15], v[64:67]// 00000000486C: D3F30040 1D021D46
	s_add_u32 s60, 0x100, s80                                  // 000000004874: 803C50FF 00000100
	s_cmp_lt_u32 s60, s81                                      // 00000000487C: BF0A513C
	s_cselect_b32 s58, s58, 0                                  // 000000004880: 853A803A
	v_mfma_f32_16x16x32_fp8_fp8 v[68:71], a[72:73], a[8:9], v[68:71]// 000000004884: D3F30044 1D121148
	buffer_load_dwordx4 a[28:31], v35, s[24:27], 0 offen offset:1024// 00000000488C: E05C1400 80861C23
	v_mfma_f32_16x16x32_fp8_fp8 v[68:71], a[74:75], a[10:11], v[68:71]// 000000004894: D3F30044 1D12154A
	s_add_u32 s20, s57, s20                                    // 00000000489C: 80141439
	s_addc_u32 s21, 0, s21                                     // 0000000048A0: 82151580
	v_mfma_f32_16x16x32_fp8_fp8 v[68:71], a[76:77], a[12:13], v[68:71]// 0000000048A4: D3F30044 1D12194C
	s_add_u32 s84, s83, s84                                    // 0000000048AC: 80545453
	s_addc_u32 s85, 0, s85                                     // 0000000048B0: 82555580
	v_mfma_f32_16x16x32_fp8_fp8 v[68:71], a[78:79], a[14:15], v[68:71]// 0000000048B4: D3F30044 1D121D4E
	buffer_load_dwordx4 a[32:35], v36, s[24:27], 0 offen       // 0000000048BC: E05C1000 80862024
	buffer_load_dwordx4 a[36:39], v36, s[24:27], 0 offen offset:1024// 0000000048C4: E05C1400 80862424
	buffer_load_dwordx4 a[40:43], v37, s[24:27], 0 offen       // 0000000048CC: E05C1000 80862825
	buffer_load_dwordx4 a[44:47], v37, s[24:27], 0 offen offset:1024// 0000000048D4: E05C1400 80862C25
	s_add_u32 s24, s58, s24                                    // 0000000048DC: 8018183A
	s_addc_u32 s25, 0, s25                                     // 0000000048E0: 82191980
	s_addk_i32 s80, 0x80                                       // 0000000048E4: B7500080
	s_cmp_lt_i32 s80, s81                                      // 0000000048E8: BF045150
	s_cbranch_scc0 label_07C0                                  // 0000000048EC: BF840001
	s_branch label_06B3                                        // 0000000048F0: BF82FEF3

00000000000048f4 <label_07C0>:
	v_mul_f32_dpp v40, v24, v40 row_newbcast:0 row_mask:0xf bank_mask:0xf// 0000000048F4: 0A5050FA FF015018
	v_mul_f32_dpp v41, v24, v41 row_newbcast:1 row_mask:0xf bank_mask:0xf// 0000000048FC: 0A5252FA FF015118
	v_mul_f32_dpp v42, v24, v42 row_newbcast:2 row_mask:0xf bank_mask:0xf// 000000004904: 0A5454FA FF015218
	v_mul_f32_dpp v43, v24, v43 row_newbcast:3 row_mask:0xf bank_mask:0xf// 00000000490C: 0A5656FA FF015318
	v_mul_f32_dpp v44, v24, v44 row_newbcast:4 row_mask:0xf bank_mask:0xf// 000000004914: 0A5858FA FF015418
	v_mul_f32_dpp v45, v24, v45 row_newbcast:5 row_mask:0xf bank_mask:0xf// 00000000491C: 0A5A5AFA FF015518
	v_mul_f32_dpp v46, v24, v46 row_newbcast:6 row_mask:0xf bank_mask:0xf// 000000004924: 0A5C5CFA FF015618
	v_mul_f32_dpp v47, v24, v47 row_newbcast:7 row_mask:0xf bank_mask:0xf// 00000000492C: 0A5E5EFA FF015718
	v_mul_f32_dpp v48, v24, v48 row_newbcast:8 row_mask:0xf bank_mask:0xf// 000000004934: 0A6060FA FF015818
	v_mul_f32_dpp v49, v24, v49 row_newbcast:9 row_mask:0xf bank_mask:0xf// 00000000493C: 0A6262FA FF015918
	v_mul_f32_dpp v50, v24, v50 row_newbcast:10 row_mask:0xf bank_mask:0xf// 000000004944: 0A6464FA FF015A18
	v_mul_f32_dpp v51, v24, v51 row_newbcast:11 row_mask:0xf bank_mask:0xf// 00000000494C: 0A6666FA FF015B18
	v_mul_f32_dpp v52, v24, v52 row_newbcast:12 row_mask:0xf bank_mask:0xf// 000000004954: 0A6868FA FF015C18
	v_mul_f32_dpp v53, v24, v53 row_newbcast:13 row_mask:0xf bank_mask:0xf// 00000000495C: 0A6A6AFA FF015D18
	v_mul_f32_dpp v54, v24, v54 row_newbcast:14 row_mask:0xf bank_mask:0xf// 000000004964: 0A6C6CFA FF015E18
	v_mul_f32_dpp v55, v24, v55 row_newbcast:15 row_mask:0xf bank_mask:0xf// 00000000496C: 0A6E6EFA FF015F18
	v_mul_f32_dpp v56, v26, v56 row_newbcast:0 row_mask:0xf bank_mask:0xf// 000000004974: 0A7070FA FF01501A
	v_mul_f32_dpp v57, v26, v57 row_newbcast:1 row_mask:0xf bank_mask:0xf// 00000000497C: 0A7272FA FF01511A
	v_mul_f32_dpp v58, v26, v58 row_newbcast:2 row_mask:0xf bank_mask:0xf// 000000004984: 0A7474FA FF01521A
	v_mul_f32_dpp v59, v26, v59 row_newbcast:3 row_mask:0xf bank_mask:0xf// 00000000498C: 0A7676FA FF01531A
	v_mul_f32_dpp v60, v26, v60 row_newbcast:4 row_mask:0xf bank_mask:0xf// 000000004994: 0A7878FA FF01541A
	v_mul_f32_dpp v61, v26, v61 row_newbcast:5 row_mask:0xf bank_mask:0xf// 00000000499C: 0A7A7AFA FF01551A
	v_mul_f32_dpp v62, v26, v62 row_newbcast:6 row_mask:0xf bank_mask:0xf// 0000000049A4: 0A7C7CFA FF01561A
	v_mul_f32_dpp v63, v26, v63 row_newbcast:7 row_mask:0xf bank_mask:0xf// 0000000049AC: 0A7E7EFA FF01571A
	v_mul_f32_dpp v64, v26, v64 row_newbcast:8 row_mask:0xf bank_mask:0xf// 0000000049B4: 0A8080FA FF01581A
	v_mul_f32_dpp v65, v26, v65 row_newbcast:9 row_mask:0xf bank_mask:0xf// 0000000049BC: 0A8282FA FF01591A
	v_mul_f32_dpp v66, v26, v66 row_newbcast:10 row_mask:0xf bank_mask:0xf// 0000000049C4: 0A8484FA FF015A1A
	v_mul_f32_dpp v67, v26, v67 row_newbcast:11 row_mask:0xf bank_mask:0xf// 0000000049CC: 0A8686FA FF015B1A
	v_mul_f32_dpp v68, v26, v68 row_newbcast:12 row_mask:0xf bank_mask:0xf// 0000000049D4: 0A8888FA FF015C1A
	v_mul_f32_dpp v69, v26, v69 row_newbcast:13 row_mask:0xf bank_mask:0xf// 0000000049DC: 0A8A8AFA FF015D1A
	v_mul_f32_dpp v70, v26, v70 row_newbcast:14 row_mask:0xf bank_mask:0xf// 0000000049E4: 0A8C8CFA FF015E1A
	v_mul_f32_dpp v71, v26, v71 row_newbcast:15 row_mask:0xf bank_mask:0xf// 0000000049EC: 0A8E8EFA FF015F1A
	v_mul_f32_e32 v29, v29, v72                                // 0000000049F4: 0A3A911D
	v_mov_b32_e32 v4, v29                                      // 0000000049F8: 7E08031D
	v_mov_b32_e32 v5, v4                                       // 0000000049FC: 7E0A0304
	v_pk_mul_f32 v[40:41], v[4:5], v[40:41]                    // 000000004A00: D3B14028 18025104
	v_pk_mul_f32 v[56:57], v[4:5], v[56:57]                    // 000000004A08: D3B14038 18027104
	v_pk_mul_f32 v[42:43], v[4:5], v[42:43]                    // 000000004A10: D3B1402A 18025504
	v_pk_mul_f32 v[58:59], v[4:5], v[58:59]                    // 000000004A18: D3B1403A 18027504
	v_pk_mul_f32 v[44:45], v[4:5], v[44:45]                    // 000000004A20: D3B1402C 18025904
	v_pk_mul_f32 v[60:61], v[4:5], v[60:61]                    // 000000004A28: D3B1403C 18027904
	v_pk_mul_f32 v[46:47], v[4:5], v[46:47]                    // 000000004A30: D3B1402E 18025D04
	v_pk_mul_f32 v[62:63], v[4:5], v[62:63]                    // 000000004A38: D3B1403E 18027D04
	v_pk_mul_f32 v[48:49], v[4:5], v[48:49]                    // 000000004A40: D3B14030 18026104
	v_pk_mul_f32 v[64:65], v[4:5], v[64:65]                    // 000000004A48: D3B14040 18028104
	v_pk_mul_f32 v[50:51], v[4:5], v[50:51]                    // 000000004A50: D3B14032 18026504
	v_pk_mul_f32 v[66:67], v[4:5], v[66:67]                    // 000000004A58: D3B14042 18028504
	v_pk_mul_f32 v[52:53], v[4:5], v[52:53]                    // 000000004A60: D3B14034 18026904
	v_pk_mul_f32 v[68:69], v[4:5], v[68:69]                    // 000000004A68: D3B14044 18028904
	v_pk_mul_f32 v[54:55], v[4:5], v[54:55]                    // 000000004A70: D3B14036 18026D04
	v_pk_mul_f32 v[70:71], v[4:5], v[70:71]                    // 000000004A78: D3B14046 18028D04
	s_cmp_eq_u32 s88, 0                                        // 000000004A80: BF068058
	s_cbranch_scc0 label_0A4A                                  // 000000004A84: BF840225
	s_cmp_eq_u32 s89, 0                                        // 000000004A88: BF068059
	s_cbranch_scc1 label_08CC                                  // 000000004A8C: BF8500A5
	v_mov_b32_e32 v8, v1                                       // 000000004A90: 7E100301
	v_mov_b32_e32 v9, v1                                       // 000000004A94: 7E120301
	s_mov_b32 s60, s6                                          // 000000004A98: BEBC0006
	s_mov_b32 s61, s6                                          // 000000004A9C: BEBD0006
	v_pk_mul_f32 v[4:5], v[40:41], v[40:41]                    // 000000004AA0: D3B14004 18025128
	v_pk_mul_f32 v[6:7], v[42:43], v[42:43]                    // 000000004AA8: D3B14006 1802552A
	v_pk_fma_f32 v[4:5], v[4:5], s[78:79], v[8:9]              // 000000004AB0: D3B04004 1C209D04
	v_pk_fma_f32 v[6:7], v[6:7], s[78:79], v[8:9]              // 000000004AB8: D3B04006 1C209D06
	v_pk_mul_f32 v[4:5], v[4:5], v[40:41]                      // 000000004AC0: D3B14004 18025104
	v_pk_mul_f32 v[6:7], v[6:7], v[42:43]                      // 000000004AC8: D3B14006 18025506
	v_pk_mul_f32 v[4:5], v[4:5], s[60:61]                      // 000000004AD0: D3B14004 18007904
	v_pk_mul_f32 v[6:7], v[6:7], s[60:61]                      // 000000004AD8: D3B14006 18007906
	v_exp_f32_e32 v4, v4                                       // 000000004AE0: 7E084104
	v_exp_f32_e32 v5, v5                                       // 000000004AE4: 7E0A4105
	v_exp_f32_e32 v6, v6                                       // 000000004AE8: 7E0C4106
	v_exp_f32_e32 v7, v7                                       // 000000004AEC: 7E0E4107
	v_add_f32_e64 v4, v4, 1.0                                  // 000000004AF0: D1010004 0001E504
	v_add_f32_e64 v5, v5, 1.0                                  // 000000004AF8: D1010005 0001E505
	v_add_f32_e64 v6, v6, 1.0                                  // 000000004B00: D1010006 0001E506
	v_add_f32_e64 v7, v7, 1.0                                  // 000000004B08: D1010007 0001E507
	v_rcp_f32_e32 v4, v4                                       // 000000004B10: 7E084504
	v_rcp_f32_e32 v5, v5                                       // 000000004B14: 7E0A4505
	v_rcp_f32_e32 v6, v6                                       // 000000004B18: 7E0C4506
	v_rcp_f32_e32 v7, v7                                       // 000000004B1C: 7E0E4507
	v_mul_f32_e32 v40, v40, v4                                 // 000000004B20: 0A500928
	v_mul_f32_e32 v41, v41, v5                                 // 000000004B24: 0A520B29
	v_mul_f32_e32 v42, v42, v6                                 // 000000004B28: 0A540D2A
	v_mul_f32_e32 v43, v43, v7                                 // 000000004B2C: 0A560F2B
	v_mul_f32_e32 v40, v40, v56                                // 000000004B30: 0A507128
	v_mul_f32_e32 v41, v41, v57                                // 000000004B34: 0A527329
	v_mul_f32_e32 v42, v42, v58                                // 000000004B38: 0A54752A
	v_mul_f32_e32 v43, v43, v59                                // 000000004B3C: 0A56772B
	v_pk_mul_f32 v[4:5], v[44:45], v[44:45]                    // 000000004B40: D3B14004 1802592C
	v_pk_mul_f32 v[6:7], v[46:47], v[46:47]                    // 000000004B48: D3B14006 18025D2E
	v_pk_fma_f32 v[4:5], v[4:5], s[78:79], v[8:9]              // 000000004B50: D3B04004 1C209D04
	v_pk_fma_f32 v[6:7], v[6:7], s[78:79], v[8:9]              // 000000004B58: D3B04006 1C209D06
	v_pk_mul_f32 v[4:5], v[4:5], v[44:45]                      // 000000004B60: D3B14004 18025904
	v_pk_mul_f32 v[6:7], v[6:7], v[46:47]                      // 000000004B68: D3B14006 18025D06
	v_pk_mul_f32 v[4:5], v[4:5], s[60:61]                      // 000000004B70: D3B14004 18007904
	v_pk_mul_f32 v[6:7], v[6:7], s[60:61]                      // 000000004B78: D3B14006 18007906
	v_exp_f32_e32 v4, v4                                       // 000000004B80: 7E084104
	v_exp_f32_e32 v5, v5                                       // 000000004B84: 7E0A4105
	v_exp_f32_e32 v6, v6                                       // 000000004B88: 7E0C4106
	v_exp_f32_e32 v7, v7                                       // 000000004B8C: 7E0E4107
	v_add_f32_e64 v4, v4, 1.0                                  // 000000004B90: D1010004 0001E504
	v_add_f32_e64 v5, v5, 1.0                                  // 000000004B98: D1010005 0001E505
	v_add_f32_e64 v6, v6, 1.0                                  // 000000004BA0: D1010006 0001E506
	v_add_f32_e64 v7, v7, 1.0                                  // 000000004BA8: D1010007 0001E507
	v_rcp_f32_e32 v4, v4                                       // 000000004BB0: 7E084504
	v_rcp_f32_e32 v5, v5                                       // 000000004BB4: 7E0A4505
	v_rcp_f32_e32 v6, v6                                       // 000000004BB8: 7E0C4506
	v_rcp_f32_e32 v7, v7                                       // 000000004BBC: 7E0E4507
	v_mul_f32_e32 v44, v44, v4                                 // 000000004BC0: 0A58092C
	v_mul_f32_e32 v45, v45, v5                                 // 000000004BC4: 0A5A0B2D
	v_mul_f32_e32 v46, v46, v6                                 // 000000004BC8: 0A5C0D2E
	v_mul_f32_e32 v47, v47, v7                                 // 000000004BCC: 0A5E0F2F
	v_mul_f32_e32 v44, v44, v60                                // 000000004BD0: 0A58792C
	v_mul_f32_e32 v45, v45, v61                                // 000000004BD4: 0A5A7B2D
	v_mul_f32_e32 v46, v46, v62                                // 000000004BD8: 0A5C7D2E
	v_mul_f32_e32 v47, v47, v63                                // 000000004BDC: 0A5E7F2F
	v_pk_mul_f32 v[4:5], v[48:49], v[48:49]                    // 000000004BE0: D3B14004 18026130
	v_pk_mul_f32 v[6:7], v[50:51], v[50:51]                    // 000000004BE8: D3B14006 18026532
	v_pk_fma_f32 v[4:5], v[4:5], s[78:79], v[8:9]              // 000000004BF0: D3B04004 1C209D04
	v_pk_fma_f32 v[6:7], v[6:7], s[78:79], v[8:9]              // 000000004BF8: D3B04006 1C209D06
	v_pk_mul_f32 v[4:5], v[4:5], v[48:49]                      // 000000004C00: D3B14004 18026104
	v_pk_mul_f32 v[6:7], v[6:7], v[50:51]                      // 000000004C08: D3B14006 18026506
	v_pk_mul_f32 v[4:5], v[4:5], s[60:61]                      // 000000004C10: D3B14004 18007904
	v_pk_mul_f32 v[6:7], v[6:7], s[60:61]                      // 000000004C18: D3B14006 18007906
	v_exp_f32_e32 v4, v4                                       // 000000004C20: 7E084104
	v_exp_f32_e32 v5, v5                                       // 000000004C24: 7E0A4105
	v_exp_f32_e32 v6, v6                                       // 000000004C28: 7E0C4106
	v_exp_f32_e32 v7, v7                                       // 000000004C2C: 7E0E4107
	v_add_f32_e64 v4, v4, 1.0                                  // 000000004C30: D1010004 0001E504
	v_add_f32_e64 v5, v5, 1.0                                  // 000000004C38: D1010005 0001E505
	v_add_f32_e64 v6, v6, 1.0                                  // 000000004C40: D1010006 0001E506
	v_add_f32_e64 v7, v7, 1.0                                  // 000000004C48: D1010007 0001E507
	v_rcp_f32_e32 v4, v4                                       // 000000004C50: 7E084504
	v_rcp_f32_e32 v5, v5                                       // 000000004C54: 7E0A4505
	v_rcp_f32_e32 v6, v6                                       // 000000004C58: 7E0C4506
	v_rcp_f32_e32 v7, v7                                       // 000000004C5C: 7E0E4507
	v_mul_f32_e32 v48, v48, v4                                 // 000000004C60: 0A600930
	v_mul_f32_e32 v49, v49, v5                                 // 000000004C64: 0A620B31
	v_mul_f32_e32 v50, v50, v6                                 // 000000004C68: 0A640D32
	v_mul_f32_e32 v51, v51, v7                                 // 000000004C6C: 0A660F33
	v_mul_f32_e32 v48, v48, v64                                // 000000004C70: 0A608130
	v_mul_f32_e32 v49, v49, v65                                // 000000004C74: 0A628331
	v_mul_f32_e32 v50, v50, v66                                // 000000004C78: 0A648532
	v_mul_f32_e32 v51, v51, v67                                // 000000004C7C: 0A668733
	v_pk_mul_f32 v[4:5], v[52:53], v[52:53]                    // 000000004C80: D3B14004 18026934
	v_pk_mul_f32 v[6:7], v[54:55], v[54:55]                    // 000000004C88: D3B14006 18026D36
	v_pk_fma_f32 v[4:5], v[4:5], s[78:79], v[8:9]              // 000000004C90: D3B04004 1C209D04
	v_pk_fma_f32 v[6:7], v[6:7], s[78:79], v[8:9]              // 000000004C98: D3B04006 1C209D06
	v_pk_mul_f32 v[4:5], v[4:5], v[52:53]                      // 000000004CA0: D3B14004 18026904
	v_pk_mul_f32 v[6:7], v[6:7], v[54:55]                      // 000000004CA8: D3B14006 18026D06
	v_pk_mul_f32 v[4:5], v[4:5], s[60:61]                      // 000000004CB0: D3B14004 18007904
	v_pk_mul_f32 v[6:7], v[6:7], s[60:61]                      // 000000004CB8: D3B14006 18007906
	v_exp_f32_e32 v4, v4                                       // 000000004CC0: 7E084104
	v_exp_f32_e32 v5, v5                                       // 000000004CC4: 7E0A4105
	v_exp_f32_e32 v6, v6                                       // 000000004CC8: 7E0C4106
	v_exp_f32_e32 v7, v7                                       // 000000004CCC: 7E0E4107
	v_add_f32_e64 v4, v4, 1.0                                  // 000000004CD0: D1010004 0001E504
	v_add_f32_e64 v5, v5, 1.0                                  // 000000004CD8: D1010005 0001E505
	v_add_f32_e64 v6, v6, 1.0                                  // 000000004CE0: D1010006 0001E506
	v_add_f32_e64 v7, v7, 1.0                                  // 000000004CE8: D1010007 0001E507
	v_rcp_f32_e32 v4, v4                                       // 000000004CF0: 7E084504
	v_rcp_f32_e32 v5, v5                                       // 000000004CF4: 7E0A4505
	v_rcp_f32_e32 v6, v6                                       // 000000004CF8: 7E0C4506
	v_rcp_f32_e32 v7, v7                                       // 000000004CFC: 7E0E4507
	v_mul_f32_e32 v52, v52, v4                                 // 000000004D00: 0A680934
	v_mul_f32_e32 v53, v53, v5                                 // 000000004D04: 0A6A0B35
	v_mul_f32_e32 v54, v54, v6                                 // 000000004D08: 0A6C0D36
	v_mul_f32_e32 v55, v55, v7                                 // 000000004D0C: 0A6E0F37
	v_mul_f32_e32 v52, v52, v68                                // 000000004D10: 0A688934
	v_mul_f32_e32 v53, v53, v69                                // 000000004D14: 0A6A8B35
	v_mul_f32_e32 v54, v54, v70                                // 000000004D18: 0A6C8D36
	v_mul_f32_e32 v55, v55, v71                                // 000000004D1C: 0A6E8F37
	s_branch label_094C                                        // 000000004D20: BF820080

0000000000004d24 <label_08CC>:
	v_mul_f32_e64 v4, -v40, s6                                 // 000000004D24: D1050004 20000D28
	v_mul_f32_e64 v5, -v41, s6                                 // 000000004D2C: D1050005 20000D29
	v_mul_f32_e64 v6, -v42, s6                                 // 000000004D34: D1050006 20000D2A
	v_mul_f32_e64 v7, -v43, s6                                 // 000000004D3C: D1050007 20000D2B
	v_exp_f32_e32 v4, v4                                       // 000000004D44: 7E084104
	v_exp_f32_e32 v5, v5                                       // 000000004D48: 7E0A4105
	v_exp_f32_e32 v6, v6                                       // 000000004D4C: 7E0C4106
	v_exp_f32_e32 v7, v7                                       // 000000004D50: 7E0E4107
	v_add_f32_e64 v4, v4, 1.0                                  // 000000004D54: D1010004 0001E504
	v_add_f32_e64 v5, v5, 1.0                                  // 000000004D5C: D1010005 0001E505
	v_add_f32_e64 v6, v6, 1.0                                  // 000000004D64: D1010006 0001E506
	v_add_f32_e64 v7, v7, 1.0                                  // 000000004D6C: D1010007 0001E507
	v_rcp_f32_e32 v4, v4                                       // 000000004D74: 7E084504
	v_rcp_f32_e32 v5, v5                                       // 000000004D78: 7E0A4505
	v_rcp_f32_e32 v6, v6                                       // 000000004D7C: 7E0C4506
	v_rcp_f32_e32 v7, v7                                       // 000000004D80: 7E0E4507
	v_mul_f32_e32 v40, v40, v4                                 // 000000004D84: 0A500928
	v_mul_f32_e32 v41, v41, v5                                 // 000000004D88: 0A520B29
	v_mul_f32_e32 v42, v42, v6                                 // 000000004D8C: 0A540D2A
	v_mul_f32_e32 v43, v43, v7                                 // 000000004D90: 0A560F2B
	v_mul_f32_e32 v40, v40, v56                                // 000000004D94: 0A507128
	v_mul_f32_e32 v41, v41, v57                                // 000000004D98: 0A527329
	v_mul_f32_e32 v42, v42, v58                                // 000000004D9C: 0A54752A
	v_mul_f32_e32 v43, v43, v59                                // 000000004DA0: 0A56772B
	v_mul_f32_e64 v4, -v44, s6                                 // 000000004DA4: D1050004 20000D2C
	v_mul_f32_e64 v5, -v45, s6                                 // 000000004DAC: D1050005 20000D2D
	v_mul_f32_e64 v6, -v46, s6                                 // 000000004DB4: D1050006 20000D2E
	v_mul_f32_e64 v7, -v47, s6                                 // 000000004DBC: D1050007 20000D2F
	v_exp_f32_e32 v4, v4                                       // 000000004DC4: 7E084104
	v_exp_f32_e32 v5, v5                                       // 000000004DC8: 7E0A4105
	v_exp_f32_e32 v6, v6                                       // 000000004DCC: 7E0C4106
	v_exp_f32_e32 v7, v7                                       // 000000004DD0: 7E0E4107
	v_add_f32_e64 v4, v4, 1.0                                  // 000000004DD4: D1010004 0001E504
	v_add_f32_e64 v5, v5, 1.0                                  // 000000004DDC: D1010005 0001E505
	v_add_f32_e64 v6, v6, 1.0                                  // 000000004DE4: D1010006 0001E506
	v_add_f32_e64 v7, v7, 1.0                                  // 000000004DEC: D1010007 0001E507
	v_rcp_f32_e32 v4, v4                                       // 000000004DF4: 7E084504
	v_rcp_f32_e32 v5, v5                                       // 000000004DF8: 7E0A4505
	v_rcp_f32_e32 v6, v6                                       // 000000004DFC: 7E0C4506
	v_rcp_f32_e32 v7, v7                                       // 000000004E00: 7E0E4507
	v_mul_f32_e32 v44, v44, v4                                 // 000000004E04: 0A58092C
	v_mul_f32_e32 v45, v45, v5                                 // 000000004E08: 0A5A0B2D
	v_mul_f32_e32 v46, v46, v6                                 // 000000004E0C: 0A5C0D2E
	v_mul_f32_e32 v47, v47, v7                                 // 000000004E10: 0A5E0F2F
	v_mul_f32_e32 v44, v44, v60                                // 000000004E14: 0A58792C
	v_mul_f32_e32 v45, v45, v61                                // 000000004E18: 0A5A7B2D
	v_mul_f32_e32 v46, v46, v62                                // 000000004E1C: 0A5C7D2E
	v_mul_f32_e32 v47, v47, v63                                // 000000004E20: 0A5E7F2F
	v_mul_f32_e64 v4, -v48, s6                                 // 000000004E24: D1050004 20000D30
	v_mul_f32_e64 v5, -v49, s6                                 // 000000004E2C: D1050005 20000D31
	v_mul_f32_e64 v6, -v50, s6                                 // 000000004E34: D1050006 20000D32
	v_mul_f32_e64 v7, -v51, s6                                 // 000000004E3C: D1050007 20000D33
	v_exp_f32_e32 v4, v4                                       // 000000004E44: 7E084104
	v_exp_f32_e32 v5, v5                                       // 000000004E48: 7E0A4105
	v_exp_f32_e32 v6, v6                                       // 000000004E4C: 7E0C4106
	v_exp_f32_e32 v7, v7                                       // 000000004E50: 7E0E4107
	v_add_f32_e64 v4, v4, 1.0                                  // 000000004E54: D1010004 0001E504
	v_add_f32_e64 v5, v5, 1.0                                  // 000000004E5C: D1010005 0001E505
	v_add_f32_e64 v6, v6, 1.0                                  // 000000004E64: D1010006 0001E506
	v_add_f32_e64 v7, v7, 1.0                                  // 000000004E6C: D1010007 0001E507
	v_rcp_f32_e32 v4, v4                                       // 000000004E74: 7E084504
	v_rcp_f32_e32 v5, v5                                       // 000000004E78: 7E0A4505
	v_rcp_f32_e32 v6, v6                                       // 000000004E7C: 7E0C4506
	v_rcp_f32_e32 v7, v7                                       // 000000004E80: 7E0E4507
	v_mul_f32_e32 v48, v48, v4                                 // 000000004E84: 0A600930
	v_mul_f32_e32 v49, v49, v5                                 // 000000004E88: 0A620B31
	v_mul_f32_e32 v50, v50, v6                                 // 000000004E8C: 0A640D32
	v_mul_f32_e32 v51, v51, v7                                 // 000000004E90: 0A660F33
	v_mul_f32_e32 v48, v48, v64                                // 000000004E94: 0A608130
	v_mul_f32_e32 v49, v49, v65                                // 000000004E98: 0A628331
	v_mul_f32_e32 v50, v50, v66                                // 000000004E9C: 0A648532
	v_mul_f32_e32 v51, v51, v67                                // 000000004EA0: 0A668733
	v_mul_f32_e64 v4, -v52, s6                                 // 000000004EA4: D1050004 20000D34
	v_mul_f32_e64 v5, -v53, s6                                 // 000000004EAC: D1050005 20000D35
	v_mul_f32_e64 v6, -v54, s6                                 // 000000004EB4: D1050006 20000D36
	v_mul_f32_e64 v7, -v55, s6                                 // 000000004EBC: D1050007 20000D37
	v_exp_f32_e32 v4, v4                                       // 000000004EC4: 7E084104
	v_exp_f32_e32 v5, v5                                       // 000000004EC8: 7E0A4105
	v_exp_f32_e32 v6, v6                                       // 000000004ECC: 7E0C4106
	v_exp_f32_e32 v7, v7                                       // 000000004ED0: 7E0E4107
	v_add_f32_e64 v4, v4, 1.0                                  // 000000004ED4: D1010004 0001E504
	v_add_f32_e64 v5, v5, 1.0                                  // 000000004EDC: D1010005 0001E505
	v_add_f32_e64 v6, v6, 1.0                                  // 000000004EE4: D1010006 0001E506
	v_add_f32_e64 v7, v7, 1.0                                  // 000000004EEC: D1010007 0001E507
	v_rcp_f32_e32 v4, v4                                       // 000000004EF4: 7E084504
	v_rcp_f32_e32 v5, v5                                       // 000000004EF8: 7E0A4505
	v_rcp_f32_e32 v6, v6                                       // 000000004EFC: 7E0C4506
	v_rcp_f32_e32 v7, v7                                       // 000000004F00: 7E0E4507
	v_mul_f32_e32 v52, v52, v4                                 // 000000004F04: 0A680934
	v_mul_f32_e32 v53, v53, v5                                 // 000000004F08: 0A6A0B35
	v_mul_f32_e32 v54, v54, v6                                 // 000000004F0C: 0A6C0D36
	v_mul_f32_e32 v55, v55, v7                                 // 000000004F10: 0A6E0F37
	v_mul_f32_e32 v52, v52, v68                                // 000000004F14: 0A688934
	v_mul_f32_e32 v53, v53, v69                                // 000000004F18: 0A6A8B35
	v_mul_f32_e32 v54, v54, v70                                // 000000004F1C: 0A6C8D36
	v_mul_f32_e32 v55, v55, v71                                // 000000004F20: 0A6E8F37

0000000000004f24 <label_094C>:
	v_cmp_u_f32_e64 s[46:47], v40, v40                         // 000000004F24: D048002E 00025128
	v_add3_u32 v16, v40, v19, 1                                // 000000004F2C: D1FF0010 02062728
	v_cndmask_b32_e64 v4, v16, v18, s[46:47]                   // 000000004F34: D1000004 00BA2510
	v_cmp_u_f32_e64 s[46:47], v41, v41                         // 000000004F3C: D048002E 00025329
	v_add3_u32 v16, v41, v19, 1                                // 000000004F44: D1FF0010 02062729
	v_cndmask_b32_e64 v5, v16, v18, s[46:47]                   // 000000004F4C: D1000005 00BA2510
	v_perm_b32 v40, v5, v4, s52                                // 000000004F54: D1ED0028 00D20905
	v_cmp_u_f32_e64 s[46:47], v42, v42                         // 000000004F5C: D048002E 0002552A
	v_add3_u32 v16, v42, v19, 1                                // 000000004F64: D1FF0010 0206272A
	v_cndmask_b32_e64 v4, v16, v18, s[46:47]                   // 000000004F6C: D1000004 00BA2510
	v_cmp_u_f32_e64 s[46:47], v43, v43                         // 000000004F74: D048002E 0002572B
	v_add3_u32 v16, v43, v19, 1                                // 000000004F7C: D1FF0010 0206272B
	v_cndmask_b32_e64 v5, v16, v18, s[46:47]                   // 000000004F84: D1000005 00BA2510
	v_perm_b32 v41, v5, v4, s52                                // 000000004F8C: D1ED0029 00D20905
	v_cmp_u_f32_e64 s[46:47], v44, v44                         // 000000004F94: D048002E 0002592C
	v_add3_u32 v16, v44, v19, 1                                // 000000004F9C: D1FF0010 0206272C
	v_cndmask_b32_e64 v4, v16, v18, s[46:47]                   // 000000004FA4: D1000004 00BA2510
	v_cmp_u_f32_e64 s[46:47], v45, v45                         // 000000004FAC: D048002E 00025B2D
	v_add3_u32 v16, v45, v19, 1                                // 000000004FB4: D1FF0010 0206272D
	v_cndmask_b32_e64 v5, v16, v18, s[46:47]                   // 000000004FBC: D1000005 00BA2510
	v_perm_b32 v42, v5, v4, s52                                // 000000004FC4: D1ED002A 00D20905
	v_cmp_u_f32_e64 s[46:47], v46, v46                         // 000000004FCC: D048002E 00025D2E
	v_add3_u32 v16, v46, v19, 1                                // 000000004FD4: D1FF0010 0206272E
	v_cndmask_b32_e64 v4, v16, v18, s[46:47]                   // 000000004FDC: D1000004 00BA2510
	v_cmp_u_f32_e64 s[46:47], v47, v47                         // 000000004FE4: D048002E 00025F2F
	v_add3_u32 v16, v47, v19, 1                                // 000000004FEC: D1FF0010 0206272F
	v_cndmask_b32_e64 v5, v16, v18, s[46:47]                   // 000000004FF4: D1000005 00BA2510
	v_perm_b32 v43, v5, v4, s52                                // 000000004FFC: D1ED002B 00D20905
	v_cmp_u_f32_e64 s[46:47], v48, v48                         // 000000005004: D048002E 00026130
	v_add3_u32 v16, v48, v19, 1                                // 00000000500C: D1FF0010 02062730
	v_cndmask_b32_e64 v4, v16, v18, s[46:47]                   // 000000005014: D1000004 00BA2510
	v_cmp_u_f32_e64 s[46:47], v49, v49                         // 00000000501C: D048002E 00026331
	v_add3_u32 v16, v49, v19, 1                                // 000000005024: D1FF0010 02062731
	v_cndmask_b32_e64 v5, v16, v18, s[46:47]                   // 00000000502C: D1000005 00BA2510
	v_perm_b32 v44, v5, v4, s52                                // 000000005034: D1ED002C 00D20905
	v_cmp_u_f32_e64 s[46:47], v50, v50                         // 00000000503C: D048002E 00026532
	v_add3_u32 v16, v50, v19, 1                                // 000000005044: D1FF0010 02062732
	v_cndmask_b32_e64 v4, v16, v18, s[46:47]                   // 00000000504C: D1000004 00BA2510
	v_cmp_u_f32_e64 s[46:47], v51, v51                         // 000000005054: D048002E 00026733
	v_add3_u32 v16, v51, v19, 1                                // 00000000505C: D1FF0010 02062733
	v_cndmask_b32_e64 v5, v16, v18, s[46:47]                   // 000000005064: D1000005 00BA2510
	v_perm_b32 v45, v5, v4, s52                                // 00000000506C: D1ED002D 00D20905
	v_cmp_u_f32_e64 s[46:47], v52, v52                         // 000000005074: D048002E 00026934
	v_add3_u32 v16, v52, v19, 1                                // 00000000507C: D1FF0010 02062734
	v_cndmask_b32_e64 v4, v16, v18, s[46:47]                   // 000000005084: D1000004 00BA2510
	v_cmp_u_f32_e64 s[46:47], v53, v53                         // 00000000508C: D048002E 00026B35
	v_add3_u32 v16, v53, v19, 1                                // 000000005094: D1FF0010 02062735
	v_cndmask_b32_e64 v5, v16, v18, s[46:47]                   // 00000000509C: D1000005 00BA2510
	v_perm_b32 v46, v5, v4, s52                                // 0000000050A4: D1ED002E 00D20905
	v_cmp_u_f32_e64 s[46:47], v54, v54                         // 0000000050AC: D048002E 00026D36
	v_add3_u32 v16, v54, v19, 1                                // 0000000050B4: D1FF0010 02062736
	v_cndmask_b32_e64 v4, v16, v18, s[46:47]                   // 0000000050BC: D1000004 00BA2510
	v_cmp_u_f32_e64 s[46:47], v55, v55                         // 0000000050C4: D048002E 00026F37
	v_add3_u32 v16, v55, v19, 1                                // 0000000050CC: D1FF0010 02062737
	v_cndmask_b32_e64 v5, v16, v18, s[46:47]                   // 0000000050D4: D1000005 00BA2510
	v_perm_b32 v47, v5, v4, s52                                // 0000000050DC: D1ED002F 00D20905
	ds_write_b64 v20, v[40:41]                                 // 0000000050E4: D89A0000 00002814
	ds_write_b64 v20, v[42:43] offset:2176                     // 0000000050EC: D89A0880 00002A14
	ds_write_b64 v20, v[44:45] offset:4352                     // 0000000050F4: D89A1100 00002C14
	ds_write_b64 v20, v[46:47] offset:6528                     // 0000000050FC: D89A1980 00002E14
	v_lshrrev_b32_e32 v4, 5, v0                                // 000000005104: 20080085
	v_xor_b32_e32 v5, 1, v4                                    // 000000005108: 2A0A0881
	s_mul_i32 s60, s65, 2                                      // 00000000510C: 923C8241
	s_cmp_eq_u32 s88, 0                                        // 000000005110: BF068058
	s_cselect_b32 s61, 1, 4                                    // 000000005114: 853D8481
	s_mul_i32 s60, s61, s60                                    // 000000005118: 923C3C3D
	v_readlane_b32 s82, v3, 0                                  // 00000000511C: D2890052 00010103
	s_lshr_b32 s61, s82, 24                                    // 000000005124: 8F3D9852
	s_and_b32 s82, s82, 0xffffff                               // 000000005128: 8652FF52 00FFFFFF
	s_mul_i32 s82, s82, s71                                    // 000000005130: 92524752
	s_mul_i32 s61, s60, s61                                    // 000000005134: 923D3D3C
	s_add_u32 s82, s82, s61                                    // 000000005138: 80523D52
	v_mul_lo_u32 v6, v5, s82                                   // 00000000513C: D2850006 0000A505
	v_readlane_b32 s82, v3, 1                                  // 000000005144: D2890052 00010303
	s_lshr_b32 s61, s82, 24                                    // 00000000514C: 8F3D9852
	s_and_b32 s82, s82, 0xffffff                               // 000000005150: 8652FF52 00FFFFFF
	s_mul_i32 s82, s82, s71                                    // 000000005158: 92524752
	s_mul_i32 s61, s60, s61                                    // 00000000515C: 923D3D3C
	s_add_u32 s82, s82, s61                                    // 000000005160: 80523D52
	v_mul_lo_u32 v7, v4, s82                                   // 000000005164: D2850007 0000A504
	v_add_u32_e32 v32, v6, v7                                  // 00000000516C: 68400F06
	v_readlane_b32 s82, v3, 2                                  // 000000005170: D2890052 00010503
	s_lshr_b32 s61, s82, 24                                    // 000000005178: 8F3D9852
	s_and_b32 s82, s82, 0xffffff                               // 00000000517C: 8652FF52 00FFFFFF
	s_mul_i32 s82, s82, s71                                    // 000000005184: 92524752
	s_mul_i32 s61, s60, s61                                    // 000000005188: 923D3D3C
	s_add_u32 s82, s82, s61                                    // 00000000518C: 80523D52
	v_mul_lo_u32 v6, v5, s82                                   // 000000005190: D2850006 0000A505
	v_readlane_b32 s82, v3, 3                                  // 000000005198: D2890052 00010703
	s_lshr_b32 s61, s82, 24                                    // 0000000051A0: 8F3D9852
	s_and_b32 s82, s82, 0xffffff                               // 0000000051A4: 8652FF52 00FFFFFF
	s_mul_i32 s82, s82, s71                                    // 0000000051AC: 92524752
	s_mul_i32 s61, s60, s61                                    // 0000000051B0: 923D3D3C
	s_add_u32 s82, s82, s61                                    // 0000000051B4: 80523D52
	v_mul_lo_u32 v7, v4, s82                                   // 0000000051B8: D2850007 0000A504
	v_add_u32_e32 v33, v6, v7                                  // 0000000051C0: 68420F06
	v_and_b32_e32 v4, 31, v0                                   // 0000000051C4: 2608009F
	v_lshrrev_b32_e32 v4, 1, v4                                // 0000000051C8: 20080881
	s_cmp_eq_u32 s88, 0                                        // 0000000051CC: BF068058
	s_cselect_b32 s61, 2, 4                                    // 0000000051D0: 853D8482
	v_mul_lo_u32 v4, v4, s61                                   // 0000000051D4: D2850004 00007B04
	v_and_b32_e64 v5, v0, 1                                    // 0000000051DC: D1130005 00010300
	v_add_u32_e32 v4, v4, v5                                   // 0000000051E4: 68080B04
	v_lshlrev_b32_e32 v4, 2, v4                                // 0000000051E8: 24080882
	v_add_u32_e32 v32, v32, v4                                 // 0000000051EC: 68400920
	v_add_u32_e32 v33, v33, v4                                 // 0000000051F0: 68420921
	s_waitcnt lgkmcnt(0)                                       // 0000000051F4: BF8CC07F
	s_barrier                                                  // 0000000051F8: BF8A0000
	ds_read_b32 v40, v21                                       // 0000000051FC: D86C0000 28000015
	ds_read_b32 v41, v21 offset:64                             // 000000005204: D86C0040 29000015
	ds_read_b32 v42, v21 offset:2176                           // 00000000520C: D86C0880 2A000015
	ds_read_b32 v43, v21 offset:2240                           // 000000005214: D86C08C0 2B000015
	ds_read_b32 v44, v21 offset:4352                           // 00000000521C: D86C1100 2C000015
	ds_read_b32 v45, v21 offset:4416                           // 000000005224: D86C1140 2D000015
	ds_read_b32 v46, v21 offset:6528                           // 00000000522C: D86C1980 2E000015
	ds_read_b32 v47, v21 offset:6592                           // 000000005234: D86C19C0 2F000015
	s_waitcnt lgkmcnt(0)                                       // 00000000523C: BF8CC07F
	s_mov_b32 s36, -1                                          // 000000005240: BEA400C1
	s_mov_b32 s37, -1                                          // 000000005244: BEA500C1
	v_mov_b32_e32 v7, 0                                        // 000000005248: 7E0E0280
	s_or_b32 s9, s9, 0x40000                                   // 00000000524C: 8709FF09 00040000
	s_mov_b64 exec, s[36:37]                                   // 000000005254: BEFE0124
	v_mov_b32_e32 v6, v32                                      // 000000005258: 7E0C0320
	s_mov_b64 s[60:61], 0                                      // 00000000525C: BEBC0180
	v_readlane_b32 s82, v3, 0                                  // 000000005260: D2890052 00010103
	s_and_b32 s82, s82, 0xffffff                               // 000000005268: 8652FF52 00FFFFFF
	s_cmp_lt_u32 s82, s66                                      // 000000005270: BF0A4252
	s_cselect_b32 s20, s36, s60                                // 000000005274: 85143C24
	v_readlane_b32 s82, v3, 1                                  // 000000005278: D2890052 00010303
	s_and_b32 s82, s82, 0xffffff                               // 000000005280: 8652FF52 00FFFFFF
	s_cmp_lt_u32 s82, s66                                      // 000000005288: BF0A4252
	s_cselect_b32 s21, s36, s60                                // 00000000528C: 85153C24
	s_mov_b64 exec, s[20:21]                                   // 000000005290: BEFE0114
	buffer_store_dword v40, v6, s[8:11], 0 offen               // 000000005294: E0701000 80022806
	buffer_store_dword v42, v6, s[8:11], 0 offen offset:128    // 00000000529C: E0701080 80022A06
	buffer_store_dword v44, v6, s[8:11], 0 offen offset:256    // 0000000052A4: E0701100 80022C06
	buffer_store_dword v46, v6, s[8:11], 0 offen offset:384    // 0000000052AC: E0701180 80022E06
	s_mov_b64 exec, s[36:37]                                   // 0000000052B4: BEFE0124
	v_mov_b32_e32 v6, v33                                      // 0000000052B8: 7E0C0321
	s_mov_b64 s[60:61], 0                                      // 0000000052BC: BEBC0180
	v_readlane_b32 s82, v3, 2                                  // 0000000052C0: D2890052 00010503
	s_and_b32 s82, s82, 0xffffff                               // 0000000052C8: 8652FF52 00FFFFFF
	s_cmp_lt_u32 s82, s66                                      // 0000000052D0: BF0A4252
	s_cselect_b32 s20, s36, s60                                // 0000000052D4: 85143C24
	v_readlane_b32 s82, v3, 3                                  // 0000000052D8: D2890052 00010703
	s_and_b32 s82, s82, 0xffffff                               // 0000000052E0: 8652FF52 00FFFFFF
	s_cmp_lt_u32 s82, s66                                      // 0000000052E8: BF0A4252
	s_cselect_b32 s21, s36, s60                                // 0000000052EC: 85153C24
	s_mov_b64 exec, s[20:21]                                   // 0000000052F0: BEFE0114
	buffer_store_dword v41, v6, s[8:11], 0 offen               // 0000000052F4: E0701000 80022906
	buffer_store_dword v43, v6, s[8:11], 0 offen offset:128    // 0000000052FC: E0701080 80022B06
	buffer_store_dword v45, v6, s[8:11], 0 offen offset:256    // 000000005304: E0701100 80022D06
	buffer_store_dword v47, v6, s[8:11], 0 offen offset:384    // 00000000530C: E0701180 80022F06
	s_mov_b64 exec, s[36:37]                                   // 000000005314: BEFE0124
	s_branch label_0BC0                                        // 000000005318: BF820176

000000000000531c <label_0A4A>:
	ds_write_b64 v20, v[40:41]                                 // 00000000531C: D89A0000 00002814
	ds_write_b64 v20, v[44:45] offset:2176                     // 000000005324: D89A0880 00002C14
	ds_write_b64 v20, v[48:49] offset:4352                     // 00000000532C: D89A1100 00003014
	ds_write_b64 v20, v[52:53] offset:6528                     // 000000005334: D89A1980 00003414
	v_lshrrev_b32_e32 v4, 5, v0                                // 00000000533C: 20080085
	v_xor_b32_e32 v5, 1, v4                                    // 000000005340: 2A0A0881
	s_mul_i32 s60, s65, 2                                      // 000000005344: 923C8241
	s_cmp_eq_u32 s88, 0                                        // 000000005348: BF068058
	s_cselect_b32 s61, 1, 4                                    // 00000000534C: 853D8481
	s_mul_i32 s60, s61, s60                                    // 000000005350: 923C3C3D
	v_readlane_b32 s82, v3, 0                                  // 000000005354: D2890052 00010103
	s_lshr_b32 s61, s82, 24                                    // 00000000535C: 8F3D9852
	s_and_b32 s82, s82, 0xffffff                               // 000000005360: 8652FF52 00FFFFFF
	s_mul_i32 s82, s82, s71                                    // 000000005368: 92524752
	s_mul_i32 s61, s60, s61                                    // 00000000536C: 923D3D3C
	s_add_u32 s82, s82, s61                                    // 000000005370: 80523D52
	v_mul_lo_u32 v6, v5, s82                                   // 000000005374: D2850006 0000A505
	v_readlane_b32 s82, v3, 1                                  // 00000000537C: D2890052 00010303
	s_lshr_b32 s61, s82, 24                                    // 000000005384: 8F3D9852
	s_and_b32 s82, s82, 0xffffff                               // 000000005388: 8652FF52 00FFFFFF
	s_mul_i32 s82, s82, s71                                    // 000000005390: 92524752
	s_mul_i32 s61, s60, s61                                    // 000000005394: 923D3D3C
	s_add_u32 s82, s82, s61                                    // 000000005398: 80523D52
	v_mul_lo_u32 v7, v4, s82                                   // 00000000539C: D2850007 0000A504
	v_add_u32_e32 v32, v6, v7                                  // 0000000053A4: 68400F06
	v_readlane_b32 s82, v3, 2                                  // 0000000053A8: D2890052 00010503
	s_lshr_b32 s61, s82, 24                                    // 0000000053B0: 8F3D9852
	s_and_b32 s82, s82, 0xffffff                               // 0000000053B4: 8652FF52 00FFFFFF
	s_mul_i32 s82, s82, s71                                    // 0000000053BC: 92524752
	s_mul_i32 s61, s60, s61                                    // 0000000053C0: 923D3D3C
	s_add_u32 s82, s82, s61                                    // 0000000053C4: 80523D52
	v_mul_lo_u32 v6, v5, s82                                   // 0000000053C8: D2850006 0000A505
	v_readlane_b32 s82, v3, 3                                  // 0000000053D0: D2890052 00010703
	s_lshr_b32 s61, s82, 24                                    // 0000000053D8: 8F3D9852
	s_and_b32 s82, s82, 0xffffff                               // 0000000053DC: 8652FF52 00FFFFFF
	s_mul_i32 s82, s82, s71                                    // 0000000053E4: 92524752
	s_mul_i32 s61, s60, s61                                    // 0000000053E8: 923D3D3C
	s_add_u32 s82, s82, s61                                    // 0000000053EC: 80523D52
	v_mul_lo_u32 v7, v4, s82                                   // 0000000053F0: D2850007 0000A504
	v_add_u32_e32 v33, v6, v7                                  // 0000000053F8: 68420F06
	v_and_b32_e32 v4, 31, v0                                   // 0000000053FC: 2608009F
	v_lshrrev_b32_e32 v4, 1, v4                                // 000000005400: 20080881
	s_cmp_eq_u32 s88, 0                                        // 000000005404: BF068058
	s_cselect_b32 s61, 2, 4                                    // 000000005408: 853D8482
	v_mul_lo_u32 v4, v4, s61                                   // 00000000540C: D2850004 00007B04
	v_and_b32_e64 v5, v0, 1                                    // 000000005414: D1130005 00010300
	v_add_u32_e32 v4, v4, v5                                   // 00000000541C: 68080B04
	v_lshlrev_b32_e32 v4, 2, v4                                // 000000005420: 24080882
	v_add_u32_e32 v32, v32, v4                                 // 000000005424: 68400920
	v_add_u32_e32 v33, v33, v4                                 // 000000005428: 68420921
	s_waitcnt lgkmcnt(0)                                       // 00000000542C: BF8CC07F
	s_barrier                                                  // 000000005430: BF8A0000
	ds_read_b32 v40, v21                                       // 000000005434: D86C0000 28000015
	ds_read_b32 v41, v21 offset:64                             // 00000000543C: D86C0040 29000015
	ds_read_b32 v44, v21 offset:2176                           // 000000005444: D86C0880 2C000015
	ds_read_b32 v45, v21 offset:2240                           // 00000000544C: D86C08C0 2D000015
	ds_read_b32 v48, v21 offset:4352                           // 000000005454: D86C1100 30000015
	ds_read_b32 v49, v21 offset:4416                           // 00000000545C: D86C1140 31000015
	ds_read_b32 v52, v21 offset:6528                           // 000000005464: D86C1980 34000015
	ds_read_b32 v53, v21 offset:6592                           // 00000000546C: D86C19C0 35000015
	s_waitcnt lgkmcnt(0)                                       // 000000005474: BF8CC07F
	s_mov_b32 s36, -1                                          // 000000005478: BEA400C1
	s_mov_b32 s37, -1                                          // 00000000547C: BEA500C1
	v_mov_b32_e32 v7, 0                                        // 000000005480: 7E0E0280
	s_mov_b64 exec, s[36:37]                                   // 000000005484: BEFE0124
	v_mov_b32_e32 v6, v32                                      // 000000005488: 7E0C0320
	s_mov_b64 s[60:61], 0                                      // 00000000548C: BEBC0180
	v_readlane_b32 s82, v3, 0                                  // 000000005490: D2890052 00010103
	s_and_b32 s82, s82, 0xffffff                               // 000000005498: 8652FF52 00FFFFFF
	s_cmp_lt_u32 s82, s66                                      // 0000000054A0: BF0A4252
	s_cselect_b32 s20, s36, s60                                // 0000000054A4: 85143C24
	v_readlane_b32 s82, v3, 1                                  // 0000000054A8: D2890052 00010303
	s_and_b32 s82, s82, 0xffffff                               // 0000000054B0: 8652FF52 00FFFFFF
	s_cmp_lt_u32 s82, s66                                      // 0000000054B8: BF0A4252
	s_cselect_b32 s21, s36, s60                                // 0000000054BC: 85153C24
	s_mov_b64 exec, s[20:21]                                   // 0000000054C0: BEFE0114
	global_atomic_add_f32 v6, v40, s[8:9]                      // 0000000054C4: DD348000 00082806
	global_atomic_add_f32 v6, v44, s[8:9] offset:256           // 0000000054CC: DD348100 00082C06
	global_atomic_add_f32 v6, v48, s[8:9] offset:512           // 0000000054D4: DD348200 00083006
	global_atomic_add_f32 v6, v52, s[8:9] offset:768           // 0000000054DC: DD348300 00083406
	s_mov_b64 exec, s[36:37]                                   // 0000000054E4: BEFE0124
	v_mov_b32_e32 v6, v33                                      // 0000000054E8: 7E0C0321
	s_mov_b64 s[60:61], 0                                      // 0000000054EC: BEBC0180
	v_readlane_b32 s82, v3, 2                                  // 0000000054F0: D2890052 00010503
	s_and_b32 s82, s82, 0xffffff                               // 0000000054F8: 8652FF52 00FFFFFF
	s_cmp_lt_u32 s82, s66                                      // 000000005500: BF0A4252
	s_cselect_b32 s20, s36, s60                                // 000000005504: 85143C24
	v_readlane_b32 s82, v3, 3                                  // 000000005508: D2890052 00010703
	s_and_b32 s82, s82, 0xffffff                               // 000000005510: 8652FF52 00FFFFFF
	s_cmp_lt_u32 s82, s66                                      // 000000005518: BF0A4252
	s_cselect_b32 s21, s36, s60                                // 00000000551C: 85153C24
	s_mov_b64 exec, s[20:21]                                   // 000000005520: BEFE0114
	global_atomic_add_f32 v6, v41, s[8:9]                      // 000000005524: DD348000 00082906
	global_atomic_add_f32 v6, v45, s[8:9] offset:256           // 00000000552C: DD348100 00082D06
	global_atomic_add_f32 v6, v49, s[8:9] offset:512           // 000000005534: DD348200 00083106
	global_atomic_add_f32 v6, v53, s[8:9] offset:768           // 00000000553C: DD348300 00083506
	s_mov_b64 exec, s[36:37]                                   // 000000005544: BEFE0124
	ds_write_b64 v20, v[42:43]                                 // 000000005548: D89A0000 00002A14
	ds_write_b64 v20, v[46:47] offset:2176                     // 000000005550: D89A0880 00002E14
	ds_write_b64 v20, v[50:51] offset:4352                     // 000000005558: D89A1100 00003214
	ds_write_b64 v20, v[54:55] offset:6528                     // 000000005560: D89A1980 00003614
	s_waitcnt lgkmcnt(0)                                       // 000000005568: BF8CC07F
	s_barrier                                                  // 00000000556C: BF8A0000
	ds_read_b32 v42, v21                                       // 000000005570: D86C0000 2A000015
	ds_read_b32 v43, v21 offset:64                             // 000000005578: D86C0040 2B000015
	ds_read_b32 v46, v21 offset:2176                           // 000000005580: D86C0880 2E000015
	ds_read_b32 v47, v21 offset:2240                           // 000000005588: D86C08C0 2F000015
	ds_read_b32 v50, v21 offset:4352                           // 000000005590: D86C1100 32000015
	ds_read_b32 v51, v21 offset:4416                           // 000000005598: D86C1140 33000015
	ds_read_b32 v54, v21 offset:6528                           // 0000000055A0: D86C1980 36000015
	ds_read_b32 v55, v21 offset:6592                           // 0000000055A8: D86C19C0 37000015
	s_waitcnt lgkmcnt(0)                                       // 0000000055B0: BF8CC07F
	v_mov_b32_e32 v7, 0                                        // 0000000055B4: 7E0E0280
	s_mov_b64 exec, s[36:37]                                   // 0000000055B8: BEFE0124
	v_mov_b32_e32 v6, v32                                      // 0000000055BC: 7E0C0320
	s_mov_b64 s[60:61], 0                                      // 0000000055C0: BEBC0180
	v_readlane_b32 s82, v3, 0                                  // 0000000055C4: D2890052 00010103
	s_and_b32 s82, s82, 0xffffff                               // 0000000055CC: 8652FF52 00FFFFFF
	s_cmp_lt_u32 s82, s66                                      // 0000000055D4: BF0A4252
	s_cselect_b32 s20, s36, s60                                // 0000000055D8: 85143C24
	v_readlane_b32 s82, v3, 1                                  // 0000000055DC: D2890052 00010303
	s_and_b32 s82, s82, 0xffffff                               // 0000000055E4: 8652FF52 00FFFFFF
	s_cmp_lt_u32 s82, s66                                      // 0000000055EC: BF0A4252
	s_cselect_b32 s21, s36, s60                                // 0000000055F0: 85153C24
	s_mov_b64 exec, s[20:21]                                   // 0000000055F4: BEFE0114
	global_atomic_add_f32 v6, v42, s[8:9] offset:8             // 0000000055F8: DD348008 00082A06
	global_atomic_add_f32 v6, v46, s[8:9] offset:264           // 000000005600: DD348108 00082E06
	global_atomic_add_f32 v6, v50, s[8:9] offset:520           // 000000005608: DD348208 00083206
	global_atomic_add_f32 v6, v54, s[8:9] offset:776           // 000000005610: DD348308 00083606
	s_mov_b64 exec, s[36:37]                                   // 000000005618: BEFE0124
	v_mov_b32_e32 v6, v33                                      // 00000000561C: 7E0C0321
	s_mov_b64 s[60:61], 0                                      // 000000005620: BEBC0180
	v_readlane_b32 s82, v3, 2                                  // 000000005624: D2890052 00010503
	s_and_b32 s82, s82, 0xffffff                               // 00000000562C: 8652FF52 00FFFFFF
	s_cmp_lt_u32 s82, s66                                      // 000000005634: BF0A4252
	s_cselect_b32 s20, s36, s60                                // 000000005638: 85143C24
	v_readlane_b32 s82, v3, 3                                  // 00000000563C: D2890052 00010703
	s_and_b32 s82, s82, 0xffffff                               // 000000005644: 8652FF52 00FFFFFF
	s_cmp_lt_u32 s82, s66                                      // 00000000564C: BF0A4252
	s_cselect_b32 s21, s36, s60                                // 000000005650: 85153C24
	s_mov_b64 exec, s[20:21]                                   // 000000005654: BEFE0114
	global_atomic_add_f32 v6, v43, s[8:9] offset:8             // 000000005658: DD348008 00082B06
	global_atomic_add_f32 v6, v47, s[8:9] offset:264           // 000000005660: DD348108 00082F06
	global_atomic_add_f32 v6, v51, s[8:9] offset:520           // 000000005668: DD348208 00083306
	global_atomic_add_f32 v6, v55, s[8:9] offset:776           // 000000005670: DD348308 00083706
	s_mov_b64 exec, s[36:37]                                   // 000000005678: BEFE0124
	ds_write_b64 v20, v[56:57]                                 // 00000000567C: D89A0000 00003814
	ds_write_b64 v20, v[60:61] offset:2176                     // 000000005684: D89A0880 00003C14
	ds_write_b64 v20, v[64:65] offset:4352                     // 00000000568C: D89A1100 00004014
	ds_write_b64 v20, v[68:69] offset:6528                     // 000000005694: D89A1980 00004414
	s_waitcnt lgkmcnt(0)                                       // 00000000569C: BF8CC07F
	s_barrier                                                  // 0000000056A0: BF8A0000
	ds_read_b32 v56, v21                                       // 0000000056A4: D86C0000 38000015
	ds_read_b32 v57, v21 offset:64                             // 0000000056AC: D86C0040 39000015
	ds_read_b32 v60, v21 offset:2176                           // 0000000056B4: D86C0880 3C000015
	ds_read_b32 v61, v21 offset:2240                           // 0000000056BC: D86C08C0 3D000015
	ds_read_b32 v64, v21 offset:4352                           // 0000000056C4: D86C1100 40000015
	ds_read_b32 v65, v21 offset:4416                           // 0000000056CC: D86C1140 41000015
	ds_read_b32 v68, v21 offset:6528                           // 0000000056D4: D86C1980 44000015
	ds_read_b32 v69, v21 offset:6592                           // 0000000056DC: D86C19C0 45000015
	s_mul_i32 s60, s65, 4                                      // 0000000056E4: 923C8441
	s_add_u32 s8, s60, s8                                      // 0000000056E8: 8008083C
	s_addc_u32 s9, 0, s9                                       // 0000000056EC: 82090980
	s_waitcnt lgkmcnt(0)                                       // 0000000056F0: BF8CC07F
	v_mov_b32_e32 v7, 0                                        // 0000000056F4: 7E0E0280
	s_mov_b64 exec, s[36:37]                                   // 0000000056F8: BEFE0124
	v_mov_b32_e32 v6, v32                                      // 0000000056FC: 7E0C0320
	s_mov_b64 s[60:61], 0                                      // 000000005700: BEBC0180
	v_readlane_b32 s82, v3, 0                                  // 000000005704: D2890052 00010103
	s_and_b32 s82, s82, 0xffffff                               // 00000000570C: 8652FF52 00FFFFFF
	s_cmp_lt_u32 s82, s66                                      // 000000005714: BF0A4252
	s_cselect_b32 s20, s36, s60                                // 000000005718: 85143C24
	v_readlane_b32 s82, v3, 1                                  // 00000000571C: D2890052 00010303
	s_and_b32 s82, s82, 0xffffff                               // 000000005724: 8652FF52 00FFFFFF
	s_cmp_lt_u32 s82, s66                                      // 00000000572C: BF0A4252
	s_cselect_b32 s21, s36, s60                                // 000000005730: 85153C24
	s_mov_b64 exec, s[20:21]                                   // 000000005734: BEFE0114
	global_atomic_add_f32 v6, v56, s[8:9]                      // 000000005738: DD348000 00083806
	global_atomic_add_f32 v6, v60, s[8:9] offset:256           // 000000005740: DD348100 00083C06
	global_atomic_add_f32 v6, v64, s[8:9] offset:512           // 000000005748: DD348200 00084006
	global_atomic_add_f32 v6, v68, s[8:9] offset:768           // 000000005750: DD348300 00084406
	s_mov_b64 exec, s[36:37]                                   // 000000005758: BEFE0124
	v_mov_b32_e32 v6, v33                                      // 00000000575C: 7E0C0321
	s_mov_b64 s[60:61], 0                                      // 000000005760: BEBC0180
	v_readlane_b32 s82, v3, 2                                  // 000000005764: D2890052 00010503
	s_and_b32 s82, s82, 0xffffff                               // 00000000576C: 8652FF52 00FFFFFF
	s_cmp_lt_u32 s82, s66                                      // 000000005774: BF0A4252
	s_cselect_b32 s20, s36, s60                                // 000000005778: 85143C24
	v_readlane_b32 s82, v3, 3                                  // 00000000577C: D2890052 00010703
	s_and_b32 s82, s82, 0xffffff                               // 000000005784: 8652FF52 00FFFFFF
	s_cmp_lt_u32 s82, s66                                      // 00000000578C: BF0A4252
	s_cselect_b32 s21, s36, s60                                // 000000005790: 85153C24
	s_mov_b64 exec, s[20:21]                                   // 000000005794: BEFE0114
	global_atomic_add_f32 v6, v57, s[8:9]                      // 000000005798: DD348000 00083906
	global_atomic_add_f32 v6, v61, s[8:9] offset:256           // 0000000057A0: DD348100 00083D06
	global_atomic_add_f32 v6, v65, s[8:9] offset:512           // 0000000057A8: DD348200 00084106
	global_atomic_add_f32 v6, v69, s[8:9] offset:768           // 0000000057B0: DD348300 00084506
	s_mov_b64 exec, s[36:37]                                   // 0000000057B8: BEFE0124
	ds_write_b64 v20, v[58:59]                                 // 0000000057BC: D89A0000 00003A14
	ds_write_b64 v20, v[62:63] offset:2176                     // 0000000057C4: D89A0880 00003E14
	ds_write_b64 v20, v[66:67] offset:4352                     // 0000000057CC: D89A1100 00004214
	ds_write_b64 v20, v[70:71] offset:6528                     // 0000000057D4: D89A1980 00004614
	s_waitcnt lgkmcnt(0)                                       // 0000000057DC: BF8CC07F
	s_barrier                                                  // 0000000057E0: BF8A0000
	ds_read_b32 v58, v21                                       // 0000000057E4: D86C0000 3A000015
	ds_read_b32 v59, v21 offset:64                             // 0000000057EC: D86C0040 3B000015
	ds_read_b32 v62, v21 offset:2176                           // 0000000057F4: D86C0880 3E000015
	ds_read_b32 v63, v21 offset:2240                           // 0000000057FC: D86C08C0 3F000015
	ds_read_b32 v66, v21 offset:4352                           // 000000005804: D86C1100 42000015
	ds_read_b32 v67, v21 offset:4416                           // 00000000580C: D86C1140 43000015
	ds_read_b32 v70, v21 offset:6528                           // 000000005814: D86C1980 46000015
	ds_read_b32 v71, v21 offset:6592                           // 00000000581C: D86C19C0 47000015
	s_waitcnt lgkmcnt(0)                                       // 000000005824: BF8CC07F
	v_mov_b32_e32 v7, 0                                        // 000000005828: 7E0E0280
	s_mov_b64 exec, s[36:37]                                   // 00000000582C: BEFE0124
	v_mov_b32_e32 v6, v32                                      // 000000005830: 7E0C0320
	s_mov_b64 s[60:61], 0                                      // 000000005834: BEBC0180
	v_readlane_b32 s82, v3, 0                                  // 000000005838: D2890052 00010103
	s_and_b32 s82, s82, 0xffffff                               // 000000005840: 8652FF52 00FFFFFF
	s_cmp_lt_u32 s82, s66                                      // 000000005848: BF0A4252
	s_cselect_b32 s20, s36, s60                                // 00000000584C: 85143C24
	v_readlane_b32 s82, v3, 1                                  // 000000005850: D2890052 00010303
	s_and_b32 s82, s82, 0xffffff                               // 000000005858: 8652FF52 00FFFFFF
	s_cmp_lt_u32 s82, s66                                      // 000000005860: BF0A4252
	s_cselect_b32 s21, s36, s60                                // 000000005864: 85153C24
	s_mov_b64 exec, s[20:21]                                   // 000000005868: BEFE0114
	global_atomic_add_f32 v6, v58, s[8:9] offset:8             // 00000000586C: DD348008 00083A06
	global_atomic_add_f32 v6, v62, s[8:9] offset:264           // 000000005874: DD348108 00083E06
	global_atomic_add_f32 v6, v66, s[8:9] offset:520           // 00000000587C: DD348208 00084206
	global_atomic_add_f32 v6, v70, s[8:9] offset:776           // 000000005884: DD348308 00084606
	s_mov_b64 exec, s[36:37]                                   // 00000000588C: BEFE0124
	v_mov_b32_e32 v6, v33                                      // 000000005890: 7E0C0321
	s_mov_b64 s[60:61], 0                                      // 000000005894: BEBC0180
	v_readlane_b32 s82, v3, 2                                  // 000000005898: D2890052 00010503
	s_and_b32 s82, s82, 0xffffff                               // 0000000058A0: 8652FF52 00FFFFFF
	s_cmp_lt_u32 s82, s66                                      // 0000000058A8: BF0A4252
	s_cselect_b32 s20, s36, s60                                // 0000000058AC: 85143C24
	v_readlane_b32 s82, v3, 3                                  // 0000000058B0: D2890052 00010703
	s_and_b32 s82, s82, 0xffffff                               // 0000000058B8: 8652FF52 00FFFFFF
	s_cmp_lt_u32 s82, s66                                      // 0000000058C0: BF0A4252
	s_cselect_b32 s21, s36, s60                                // 0000000058C4: 85153C24
	s_mov_b64 exec, s[20:21]                                   // 0000000058C8: BEFE0114
	global_atomic_add_f32 v6, v59, s[8:9] offset:8             // 0000000058CC: DD348008 00083B06
	global_atomic_add_f32 v6, v63, s[8:9] offset:264           // 0000000058D4: DD348108 00083F06
	global_atomic_add_f32 v6, v67, s[8:9] offset:520           // 0000000058DC: DD348208 00084306
	global_atomic_add_f32 v6, v71, s[8:9] offset:776           // 0000000058E4: DD348308 00084706
	s_mov_b64 exec, s[36:37]                                   // 0000000058EC: BEFE0124
	s_branch label_0BC0                                        // 0000000058F0: BF820000

00000000000058f4 <label_0BC0>:
	s_waitcnt vmcnt(0) expcnt(0) lgkmcnt(0)                    // 0000000058F4: BF8C0000
	s_endpgm                                                   // 0000000058F8: BF810000
